;; amdgpu-corpus repo=ROCm/rocFFT kind=compiled arch=gfx906 opt=O3
	.text
	.amdgcn_target "amdgcn-amd-amdhsa--gfx906"
	.amdhsa_code_object_version 6
	.protected	bluestein_single_back_len1547_dim1_dp_op_CI_CI ; -- Begin function bluestein_single_back_len1547_dim1_dp_op_CI_CI
	.globl	bluestein_single_back_len1547_dim1_dp_op_CI_CI
	.p2align	8
	.type	bluestein_single_back_len1547_dim1_dp_op_CI_CI,@function
bluestein_single_back_len1547_dim1_dp_op_CI_CI: ; @bluestein_single_back_len1547_dim1_dp_op_CI_CI
; %bb.0:
	s_mov_b64 s[66:67], s[2:3]
	s_mov_b64 s[64:65], s[0:1]
	v_mul_u32_u24_e32 v1, 0x227, v0
	s_add_u32 s64, s64, s7
	v_add_u32_sdwa v3, s6, v1 dst_sel:DWORD dst_unused:UNUSED_PAD src0_sel:DWORD src1_sel:WORD_1
	s_addc_u32 s65, s65, 0
	v_mov_b32_e32 v2, v3
	buffer_store_dword v2, off, s[64:67], 0 offset:20 ; 4-byte Folded Spill
	s_nop 0
	buffer_store_dword v3, off, s[64:67], 0 offset:24 ; 4-byte Folded Spill
	s_load_dwordx4 s[0:3], s[4:5], 0x28
	v_mov_b32_e32 v4, 0
	s_waitcnt lgkmcnt(0)
	v_cmp_gt_u64_e32 vcc, s[0:1], v[3:4]
	s_and_saveexec_b64 s[0:1], vcc
	s_cbranch_execz .LBB0_23
; %bb.1:
	s_load_dwordx2 s[12:13], s[4:5], 0x0
	s_load_dwordx2 s[14:15], s[4:5], 0x38
	s_movk_i32 s0, 0x77
	v_mul_lo_u16_sdwa v1, v1, s0 dst_sel:DWORD dst_unused:UNUSED_PAD src0_sel:WORD_1 src1_sel:DWORD
	v_sub_u16_e32 v140, v0, v1
	s_movk_i32 s0, 0x5b
	v_cmp_gt_u16_e64 s[0:1], s0, v140
	v_lshlrev_b32_e32 v255, 4, v140
	s_and_saveexec_b64 s[6:7], s[0:1]
	s_cbranch_execz .LBB0_3
; %bb.2:
	s_load_dwordx2 s[8:9], s[4:5], 0x18
	s_waitcnt lgkmcnt(0)
	v_mov_b32_e32 v16, s13
	s_load_dwordx4 s[8:11], s[8:9], 0x0
	buffer_load_dword v0, off, s[64:67], 0 offset:20 ; 4-byte Folded Reload
	buffer_load_dword v1, off, s[64:67], 0 offset:24 ; 4-byte Folded Reload
	s_waitcnt lgkmcnt(0)
	v_mad_u64_u32 v[2:3], s[16:17], s8, v140, 0
	s_waitcnt vmcnt(1)
	v_mov_b32_e32 v4, v0
	s_waitcnt vmcnt(0)
	v_mad_u64_u32 v[0:1], s[16:17], s10, v4, 0
	v_mad_u64_u32 v[4:5], s[10:11], s11, v4, v[1:2]
	;; [unrolled: 1-line block ×3, first 2 shown]
	v_mov_b32_e32 v1, v4
	v_lshlrev_b64 v[0:1], 4, v[0:1]
	v_mov_b32_e32 v3, v5
	v_mov_b32_e32 v6, s3
	v_lshlrev_b64 v[2:3], 4, v[2:3]
	v_add_co_u32_e32 v0, vcc, s2, v0
	v_addc_co_u32_e32 v1, vcc, v6, v1, vcc
	v_add_co_u32_e32 v40, vcc, v0, v2
	v_addc_co_u32_e32 v41, vcc, v1, v3, vcc
	global_load_dwordx4 v[0:3], v255, s[12:13]
	global_load_dwordx4 v[4:7], v[40:41], off
	v_add_co_u32_e32 v126, vcc, s12, v255
	s_movk_i32 s2, 0x1000
	s_movk_i32 s3, 0x2000
	v_addc_co_u32_e32 v127, vcc, 0, v16, vcc
	v_add_co_u32_e32 v42, vcc, s2, v126
	v_add_co_u32_e64 v44, s[2:3], s3, v126
	v_addc_co_u32_e32 v43, vcc, 0, v127, vcc
	v_addc_co_u32_e64 v45, vcc, 0, v127, s[2:3]
	s_mul_i32 s3, s9, 0x5b0
	s_mul_hi_u32 s9, s8, 0x5b0
	s_mul_i32 s2, s8, 0x5b0
	s_add_i32 s3, s9, s3
	global_load_dwordx4 v[8:11], v255, s[12:13] offset:1456
	global_load_dwordx4 v[12:15], v255, s[12:13] offset:2912
	global_load_dwordx4 v[16:19], v[42:43], off offset:272
	global_load_dwordx4 v[20:23], v[42:43], off offset:1728
	;; [unrolled: 1-line block ×6, first 2 shown]
	v_mov_b32_e32 v42, s3
	v_add_co_u32_e32 v43, vcc, s2, v40
	v_addc_co_u32_e32 v44, vcc, v41, v42, vcc
	v_mov_b32_e32 v46, s3
	v_add_co_u32_e32 v45, vcc, s2, v43
	v_addc_co_u32_e32 v46, vcc, v44, v46, vcc
	v_mov_b32_e32 v47, s3
	v_add_co_u32_e32 v51, vcc, s2, v45
	v_addc_co_u32_e32 v52, vcc, v46, v47, vcc
	v_mov_b32_e32 v53, s3
	v_add_co_u32_e32 v55, vcc, s2, v51
	v_addc_co_u32_e32 v56, vcc, v52, v53, vcc
	v_mov_b32_e32 v57, s3
	v_add_co_u32_e32 v59, vcc, s2, v55
	v_addc_co_u32_e32 v60, vcc, v56, v57, vcc
	v_mov_b32_e32 v61, s3
	v_add_co_u32_e32 v63, vcc, s2, v59
	global_load_dwordx4 v[40:43], v[43:44], off
	v_addc_co_u32_e32 v64, vcc, v60, v61, vcc
	global_load_dwordx4 v[48:51], v[51:52], off
	v_mov_b32_e32 v65, s3
	global_load_dwordx4 v[44:47], v[45:46], off
	v_add_co_u32_e32 v67, vcc, s2, v63
	global_load_dwordx4 v[52:55], v[55:56], off
	v_addc_co_u32_e32 v68, vcc, v64, v65, vcc
	v_mov_b32_e32 v69, s3
	v_add_co_u32_e32 v71, vcc, s2, v67
	v_addc_co_u32_e32 v72, vcc, v68, v69, vcc
	v_mov_b32_e32 v73, s3
	v_add_co_u32_e32 v76, vcc, s2, v71
	v_addc_co_u32_e32 v77, vcc, v72, v73, vcc
	s_movk_i32 s8, 0x3000
	v_add_co_u32_e32 v96, vcc, s8, v126
	global_load_dwordx4 v[56:59], v[59:60], off
	v_addc_co_u32_e32 v97, vcc, 0, v127, vcc
	global_load_dwordx4 v[60:63], v[63:64], off
	v_mov_b32_e32 v78, s3
	v_add_co_u32_e32 v88, vcc, s2, v76
	global_load_dwordx4 v[64:67], v[67:68], off
	v_addc_co_u32_e32 v89, vcc, v77, v78, vcc
	global_load_dwordx4 v[68:71], v[71:72], off
	v_mov_b32_e32 v90, s3
	v_add_co_u32_e32 v98, vcc, s2, v88
	v_addc_co_u32_e32 v99, vcc, v89, v90, vcc
	global_load_dwordx4 v[72:75], v[76:77], off
	s_nop 0
	global_load_dwordx4 v[76:79], v[88:89], off
	global_load_dwordx4 v[80:83], v[96:97], off offset:816
	global_load_dwordx4 v[84:87], v[96:97], off offset:2272
	s_nop 0
	global_load_dwordx4 v[88:91], v[98:99], off
	global_load_dwordx4 v[92:95], v[96:97], off offset:3728
	v_mov_b32_e32 v96, s3
	v_add_co_u32_e32 v100, vcc, s2, v98
	v_addc_co_u32_e32 v101, vcc, v99, v96, vcc
	s_movk_i32 s8, 0x4000
	v_add_co_u32_e32 v116, vcc, s8, v126
	v_addc_co_u32_e32 v117, vcc, 0, v127, vcc
	v_mov_b32_e32 v102, s3
	v_add_co_u32_e32 v112, vcc, s2, v100
	v_addc_co_u32_e32 v113, vcc, v101, v102, vcc
	v_mov_b32_e32 v114, s3
	;; [unrolled: 3-line block ×3, first 2 shown]
	v_add_co_u32_e32 v124, vcc, s2, v120
	v_addc_co_u32_e32 v125, vcc, v121, v122, vcc
	s_movk_i32 s8, 0x5000
	global_load_dwordx4 v[96:99], v[100:101], off
	v_add_co_u32_e32 v132, vcc, s8, v126
	global_load_dwordx4 v[100:103], v[112:113], off
	global_load_dwordx4 v[104:107], v[116:117], off offset:1088
	global_load_dwordx4 v[108:111], v[116:117], off offset:2544
	v_addc_co_u32_e32 v133, vcc, 0, v127, vcc
	global_load_dwordx4 v[112:115], v[120:121], off
	s_nop 0
	global_load_dwordx4 v[116:119], v[116:117], off offset:4000
	v_mov_b32_e32 v126, s3
	v_add_co_u32_e32 v128, vcc, s2, v124
	global_load_dwordx4 v[120:123], v[124:125], off
	v_addc_co_u32_e32 v129, vcc, v125, v126, vcc
	global_load_dwordx4 v[124:127], v[132:133], off offset:1360
	s_nop 0
	global_load_dwordx4 v[128:131], v[128:129], off
	s_nop 0
	global_load_dwordx4 v[132:135], v[132:133], off offset:2816
	s_waitcnt vmcnt(32)
	v_mul_f64 v[136:137], v[6:7], v[2:3]
	v_mul_f64 v[138:139], v[4:5], v[2:3]
	v_fma_f64 v[2:3], v[4:5], v[0:1], v[136:137]
	v_fma_f64 v[4:5], v[6:7], v[0:1], -v[138:139]
	s_waitcnt vmcnt(23)
	v_mul_f64 v[0:1], v[42:43], v[10:11]
	s_waitcnt vmcnt(21)
	v_mul_f64 v[6:7], v[44:45], v[14:15]
	ds_write_b128 v255, v[2:5]
	v_mul_f64 v[2:3], v[40:41], v[10:11]
	v_mul_f64 v[4:5], v[46:47], v[14:15]
	;; [unrolled: 1-line block ×4, first 2 shown]
	s_waitcnt vmcnt(20)
	v_mul_f64 v[18:19], v[54:55], v[22:23]
	v_mul_f64 v[22:23], v[52:53], v[22:23]
	v_fma_f64 v[0:1], v[40:41], v[8:9], v[0:1]
	v_fma_f64 v[6:7], v[46:47], v[12:13], -v[6:7]
	v_fma_f64 v[2:3], v[42:43], v[8:9], -v[2:3]
	v_fma_f64 v[4:5], v[44:45], v[12:13], v[4:5]
	v_fma_f64 v[8:9], v[48:49], v[16:17], v[10:11]
	v_fma_f64 v[10:11], v[50:51], v[16:17], -v[14:15]
	v_fma_f64 v[12:13], v[52:53], v[20:21], v[18:19]
	s_waitcnt vmcnt(19)
	v_mul_f64 v[16:17], v[58:59], v[26:27]
	v_mul_f64 v[18:19], v[56:57], v[26:27]
	v_fma_f64 v[14:15], v[54:55], v[20:21], -v[22:23]
	s_waitcnt vmcnt(18)
	v_mul_f64 v[20:21], v[62:63], v[30:31]
	v_mul_f64 v[22:23], v[60:61], v[30:31]
	s_waitcnt vmcnt(17)
	v_mul_f64 v[26:27], v[66:67], v[34:35]
	v_mul_f64 v[30:31], v[64:65], v[34:35]
	;; [unrolled: 3-line block ×3, first 2 shown]
	v_fma_f64 v[16:17], v[56:57], v[24:25], v[16:17]
	v_fma_f64 v[18:19], v[58:59], v[24:25], -v[18:19]
	v_fma_f64 v[20:21], v[60:61], v[28:29], v[20:21]
	v_fma_f64 v[22:23], v[62:63], v[28:29], -v[22:23]
	;; [unrolled: 2-line block ×4, first 2 shown]
	ds_write_b128 v255, v[0:3] offset:1456
	ds_write_b128 v255, v[4:7] offset:2912
	;; [unrolled: 1-line block ×8, first 2 shown]
	s_waitcnt vmcnt(13)
	v_mul_f64 v[0:1], v[74:75], v[82:83]
	v_mul_f64 v[2:3], v[72:73], v[82:83]
	s_waitcnt vmcnt(12)
	v_mul_f64 v[4:5], v[78:79], v[86:87]
	v_mul_f64 v[6:7], v[76:77], v[86:87]
	s_waitcnt vmcnt(10)
	v_mul_f64 v[8:9], v[90:91], v[94:95]
	v_mul_f64 v[10:11], v[88:89], v[94:95]
	v_fma_f64 v[0:1], v[72:73], v[80:81], v[0:1]
	v_fma_f64 v[2:3], v[74:75], v[80:81], -v[2:3]
	v_fma_f64 v[4:5], v[76:77], v[84:85], v[4:5]
	v_fma_f64 v[6:7], v[78:79], v[84:85], -v[6:7]
	;; [unrolled: 2-line block ×3, first 2 shown]
	s_waitcnt vmcnt(7)
	v_mul_f64 v[12:13], v[98:99], v[106:107]
	v_mul_f64 v[14:15], v[96:97], v[106:107]
	s_waitcnt vmcnt(6)
	v_mul_f64 v[16:17], v[102:103], v[110:111]
	v_mul_f64 v[18:19], v[100:101], v[110:111]
	;; [unrolled: 3-line block ×3, first 2 shown]
	v_fma_f64 v[12:13], v[96:97], v[104:105], v[12:13]
	s_waitcnt vmcnt(2)
	v_mul_f64 v[24:25], v[122:123], v[126:127]
	v_mul_f64 v[26:27], v[120:121], v[126:127]
	s_waitcnt vmcnt(0)
	v_mul_f64 v[28:29], v[130:131], v[134:135]
	v_mul_f64 v[30:31], v[128:129], v[134:135]
	v_fma_f64 v[14:15], v[98:99], v[104:105], -v[14:15]
	v_fma_f64 v[16:17], v[100:101], v[108:109], v[16:17]
	v_fma_f64 v[18:19], v[102:103], v[108:109], -v[18:19]
	v_fma_f64 v[20:21], v[112:113], v[116:117], v[20:21]
	;; [unrolled: 2-line block ×4, first 2 shown]
	v_fma_f64 v[30:31], v[130:131], v[132:133], -v[30:31]
	ds_write_b128 v255, v[0:3] offset:13104
	ds_write_b128 v255, v[4:7] offset:14560
	;; [unrolled: 1-line block ×8, first 2 shown]
.LBB0_3:
	s_or_b64 exec, exec, s[6:7]
	buffer_store_dword v140, off, s[64:67], 0 ; 4-byte Folded Spill
	s_waitcnt vmcnt(0) lgkmcnt(0)
	s_barrier
	s_waitcnt lgkmcnt(0)
                                        ; implicit-def: $vgpr12_vgpr13
                                        ; implicit-def: $vgpr60_vgpr61
                                        ; implicit-def: $vgpr64_vgpr65
                                        ; implicit-def: $vgpr68_vgpr69
                                        ; implicit-def: $vgpr72_vgpr73
                                        ; implicit-def: $vgpr76_vgpr77
                                        ; implicit-def: $vgpr24_vgpr25
                                        ; implicit-def: $vgpr16_vgpr17
                                        ; implicit-def: $vgpr20_vgpr21
                                        ; implicit-def: $vgpr28_vgpr29
                                        ; implicit-def: $vgpr32_vgpr33
                                        ; implicit-def: $vgpr36_vgpr37
                                        ; implicit-def: $vgpr40_vgpr41
                                        ; implicit-def: $vgpr44_vgpr45
                                        ; implicit-def: $vgpr48_vgpr49
                                        ; implicit-def: $vgpr52_vgpr53
                                        ; implicit-def: $vgpr56_vgpr57
	s_and_saveexec_b64 s[2:3], s[0:1]
	s_cbranch_execz .LBB0_5
; %bb.4:
	ds_read_b128 v[12:15], v255
	ds_read_b128 v[60:63], v255 offset:1456
	ds_read_b128 v[64:67], v255 offset:2912
	;; [unrolled: 1-line block ×16, first 2 shown]
.LBB0_5:
	s_or_b64 exec, exec, s[2:3]
	s_waitcnt lgkmcnt(0)
	v_add_f64 v[2:3], v[62:63], -v[58:59]
	s_mov_b32 s36, 0x5d8e7cdc
	s_mov_b32 s37, 0xbfd71e95
	v_add_f64 v[0:1], v[60:61], -v[56:57]
	v_add_f64 v[110:111], v[66:67], -v[54:55]
	s_mov_b32 s44, 0x2a9d6da3
	s_mov_b32 s42, 0x7c9e640b
	;; [unrolled: 1-line block ×3, first 2 shown]
	v_mul_f64 v[4:5], v[2:3], s[36:37]
	s_mov_b32 s26, 0x923c349f
	s_mov_b32 s28, 0x6c9a05f6
	;; [unrolled: 1-line block ×7, first 2 shown]
	s_load_dwordx2 s[6:7], s[4:5], 0x20
	s_load_dwordx2 s[8:9], s[4:5], 0x8
	v_mul_f64 v[6:7], v[0:1], s[36:37]
	buffer_store_dword v4, off, s[64:67], 0 offset:64 ; 4-byte Folded Spill
	s_nop 0
	buffer_store_dword v5, off, s[64:67], 0 offset:68 ; 4-byte Folded Spill
	v_mul_f64 v[8:9], v[2:3], s[44:45]
	v_mul_f64 v[10:11], v[0:1], s[44:45]
	;; [unrolled: 1-line block ×10, first 2 shown]
	v_add_f64 v[108:109], v[64:65], -v[52:53]
	v_mul_f64 v[112:113], v[110:111], s[44:45]
	buffer_store_dword v6, off, s[64:67], 0 offset:72 ; 4-byte Folded Spill
	s_nop 0
	buffer_store_dword v7, off, s[64:67], 0 offset:76 ; 4-byte Folded Spill
	buffer_store_dword v8, off, s[64:67], 0 offset:80 ; 4-byte Folded Spill
	s_nop 0
	buffer_store_dword v9, off, s[64:67], 0 offset:84 ; 4-byte Folded Spill
	;; [unrolled: 3-line block ×11, first 2 shown]
	v_mul_f64 v[118:119], v[108:109], s[44:45]
	buffer_store_dword v112, off, s[64:67], 0 offset:144 ; 4-byte Folded Spill
	s_nop 0
	buffer_store_dword v113, off, s[64:67], 0 offset:148 ; 4-byte Folded Spill
	buffer_store_dword v118, off, s[64:67], 0 offset:160 ; 4-byte Folded Spill
	s_nop 0
	buffer_store_dword v119, off, s[64:67], 0 offset:164 ; 4-byte Folded Spill
	v_add_f64 v[114:115], v[60:61], v[56:57]
	s_mov_b32 s2, 0x370991
	s_mov_b32 s3, 0x3fedd6d0
	v_add_f64 v[116:117], v[62:63], v[58:59]
	v_add_f64 v[132:133], v[64:65], v[52:53]
	s_mov_b32 s16, 0x75d4884
	s_mov_b32 s17, 0x3fe7a5f6
	v_add_f64 v[134:135], v[66:67], v[54:55]
	s_mov_b32 s10, 0x3259b75e
	s_mov_b32 s11, 0x3fb79ee6
	;; [unrolled: 1-line block ×20, first 2 shown]
	v_mul_f64 v[96:97], v[2:3], s[34:35]
	s_mov_b32 s31, 0x3feca52d
	s_mov_b32 s30, s42
	v_mul_f64 v[100:101], v[0:1], s[34:35]
	v_mul_f64 v[2:3], v[2:3], s[38:39]
	s_mov_b32 s47, 0x3fd71e95
	s_mov_b32 s46, s36
	v_mul_f64 v[0:1], v[0:1], s[38:39]
	v_fma_f64 v[98:99], v[114:115], s[18:19], -v[96:97]
	v_fma_f64 v[96:97], v[114:115], s[18:19], v[96:97]
	v_add_f64 v[158:159], v[68:69], v[48:49]
	v_fma_f64 v[102:103], v[116:117], s[18:19], v[100:101]
	v_fma_f64 v[100:101], v[116:117], s[18:19], -v[100:101]
	v_fma_f64 v[104:105], v[114:115], s[22:23], -v[2:3]
	v_fma_f64 v[2:3], v[114:115], s[22:23], v[2:3]
	v_fma_f64 v[106:107], v[116:117], s[22:23], v[0:1]
	v_add_f64 v[98:99], v[12:13], v[98:99]
	v_add_f64 v[96:97], v[12:13], v[96:97]
	v_fma_f64 v[4:5], v[114:115], s[2:3], v[4:5]
	v_fma_f64 v[0:1], v[116:117], s[22:23], -v[0:1]
	v_add_f64 v[100:101], v[14:15], v[100:101]
	v_add_f64 v[104:105], v[12:13], v[104:105]
	;; [unrolled: 1-line block ×5, first 2 shown]
	s_mov_b32 s49, 0x3fc7851a
	v_add_f64 v[4:5], v[12:13], v[4:5]
	v_add_f64 v[0:1], v[14:15], v[0:1]
	s_mov_b32 s48, s38
	v_add_f64 v[102:103], v[14:15], v[102:103]
	v_add_f64 v[180:181], v[72:73], v[44:45]
	v_fma_f64 v[6:7], v[116:117], s[2:3], -v[6:7]
	v_fma_f64 v[8:9], v[114:115], s[16:17], v[8:9]
	v_fma_f64 v[10:11], v[116:117], s[16:17], -v[10:11]
	v_fma_f64 v[80:81], v[114:115], s[4:5], v[80:81]
	;; [unrolled: 2-line block ×4, first 2 shown]
	v_add_f64 v[6:7], v[14:15], v[6:7]
	v_add_f64 v[8:9], v[12:13], v[8:9]
	;; [unrolled: 1-line block ×4, first 2 shown]
	v_fma_f64 v[112:113], v[132:133], s[16:17], v[112:113]
	v_add_f64 v[82:83], v[14:15], v[82:83]
	v_add_f64 v[84:85], v[12:13], v[84:85]
	;; [unrolled: 1-line block ×4, first 2 shown]
	v_fma_f64 v[90:91], v[116:117], s[20:21], -v[90:91]
	v_fma_f64 v[92:93], v[114:115], s[24:25], v[92:93]
	v_fma_f64 v[94:95], v[116:117], s[24:25], -v[94:95]
	v_add_f64 v[4:5], v[112:113], v[4:5]
	v_fma_f64 v[112:113], v[134:135], s[16:17], -v[118:119]
	v_mul_f64 v[118:119], v[108:109], s[40:41]
	v_add_f64 v[182:183], v[74:75], v[46:47]
	s_mov_b32 s53, 0x3fe9895b
	v_add_f64 v[90:91], v[14:15], v[90:91]
	v_add_f64 v[92:93], v[12:13], v[92:93]
	;; [unrolled: 1-line block ×3, first 2 shown]
	s_mov_b32 s52, s28
	v_add_f64 v[6:7], v[112:113], v[6:7]
	v_mul_f64 v[112:113], v[110:111], s[40:41]
	buffer_store_dword v112, off, s[64:67], 0 offset:176 ; 4-byte Folded Spill
	s_nop 0
	buffer_store_dword v113, off, s[64:67], 0 offset:180 ; 4-byte Folded Spill
	buffer_store_dword v118, off, s[64:67], 0 offset:240 ; 4-byte Folded Spill
	s_nop 0
	buffer_store_dword v119, off, s[64:67], 0 offset:244 ; 4-byte Folded Spill
	v_add_f64 v[211:212], v[76:77], v[40:41]
	v_add_f64 v[213:214], v[78:79], v[42:43]
	;; [unrolled: 1-line block ×4, first 2 shown]
	v_add_f64 v[148:149], v[18:19], -v[34:35]
	v_add_f64 v[146:147], v[16:17], -v[32:33]
	;; [unrolled: 1-line block ×3, first 2 shown]
	v_mul_f64 v[138:139], v[148:149], s[40:41]
	v_mul_f64 v[136:137], v[146:147], s[30:31]
	;; [unrolled: 1-line block ×11, first 2 shown]
	v_fma_f64 v[112:113], v[132:133], s[10:11], v[112:113]
	v_add_f64 v[8:9], v[112:113], v[8:9]
	v_fma_f64 v[112:113], v[134:135], s[10:11], -v[118:119]
	v_mul_f64 v[118:119], v[108:109], s[28:29]
	v_add_f64 v[10:11], v[112:113], v[10:11]
	v_mul_f64 v[112:113], v[110:111], s[28:29]
	buffer_store_dword v112, off, s[64:67], 0 offset:272 ; 4-byte Folded Spill
	s_nop 0
	buffer_store_dword v113, off, s[64:67], 0 offset:276 ; 4-byte Folded Spill
	buffer_store_dword v118, off, s[64:67], 0 offset:360 ; 4-byte Folded Spill
	s_nop 0
	buffer_store_dword v119, off, s[64:67], 0 offset:364 ; 4-byte Folded Spill
	v_fma_f64 v[112:113], v[132:133], s[24:25], v[112:113]
	v_add_f64 v[80:81], v[112:113], v[80:81]
	v_fma_f64 v[112:113], v[134:135], s[24:25], -v[118:119]
	v_mul_f64 v[118:119], v[108:109], s[38:39]
	v_add_f64 v[82:83], v[112:113], v[82:83]
	v_mul_f64 v[112:113], v[110:111], s[38:39]
	buffer_store_dword v112, off, s[64:67], 0 offset:368 ; 4-byte Folded Spill
	s_nop 0
	buffer_store_dword v113, off, s[64:67], 0 offset:372 ; 4-byte Folded Spill
	buffer_store_dword v118, off, s[64:67], 0 offset:376 ; 4-byte Folded Spill
	s_nop 0
	buffer_store_dword v119, off, s[64:67], 0 offset:380 ; 4-byte Folded Spill
	;; [unrolled: 12-line block ×4, first 2 shown]
	v_fma_f64 v[112:113], v[132:133], s[20:21], v[112:113]
	v_add_f64 v[92:93], v[112:113], v[92:93]
	v_fma_f64 v[112:113], v[134:135], s[20:21], -v[118:119]
	v_add_f64 v[94:95], v[112:113], v[94:95]
	v_mul_f64 v[112:113], v[110:111], s[30:31]
	v_mul_f64 v[110:111], v[110:111], s[46:47]
	v_fma_f64 v[118:119], v[132:133], s[4:5], -v[112:113]
	v_fma_f64 v[112:113], v[132:133], s[4:5], v[112:113]
	v_add_f64 v[98:99], v[118:119], v[98:99]
	v_mul_f64 v[118:119], v[108:109], s[30:31]
	v_add_f64 v[96:97], v[112:113], v[96:97]
	v_mul_f64 v[108:109], v[108:109], s[46:47]
	v_fma_f64 v[112:113], v[134:135], s[4:5], -v[118:119]
	v_fma_f64 v[120:121], v[134:135], s[4:5], v[118:119]
	v_add_f64 v[100:101], v[112:113], v[100:101]
	v_fma_f64 v[112:113], v[132:133], s[2:3], -v[110:111]
	v_fma_f64 v[110:111], v[132:133], s[2:3], v[110:111]
	v_add_f64 v[102:103], v[120:121], v[102:103]
	v_add_f64 v[104:105], v[112:113], v[104:105]
	v_fma_f64 v[112:113], v[134:135], s[2:3], v[108:109]
	v_add_f64 v[2:3], v[110:111], v[2:3]
	v_fma_f64 v[108:109], v[134:135], s[2:3], -v[108:109]
	v_add_f64 v[110:111], v[70:71], -v[50:51]
	v_add_f64 v[106:107], v[112:113], v[106:107]
	v_add_f64 v[0:1], v[108:109], v[0:1]
	v_add_f64 v[108:109], v[68:69], -v[48:49]
	v_mul_f64 v[112:113], v[110:111], s[42:43]
	buffer_store_dword v112, off, s[64:67], 0 offset:320 ; 4-byte Folded Spill
	s_nop 0
	buffer_store_dword v113, off, s[64:67], 0 offset:324 ; 4-byte Folded Spill
	v_mul_f64 v[118:119], v[108:109], s[42:43]
	buffer_store_dword v118, off, s[64:67], 0 offset:336 ; 4-byte Folded Spill
	s_nop 0
	buffer_store_dword v119, off, s[64:67], 0 offset:340 ; 4-byte Folded Spill
	v_mul_f64 v[209:210], v[108:109], s[36:37]
	v_fma_f64 v[112:113], v[158:159], s[4:5], v[112:113]
	v_add_f64 v[4:5], v[112:113], v[4:5]
	v_fma_f64 v[112:113], v[160:161], s[4:5], -v[118:119]
	v_mul_f64 v[118:119], v[108:109], s[28:29]
	v_add_f64 v[6:7], v[112:113], v[6:7]
	v_mul_f64 v[112:113], v[110:111], s[28:29]
	buffer_store_dword v112, off, s[64:67], 0 offset:352 ; 4-byte Folded Spill
	s_nop 0
	buffer_store_dword v113, off, s[64:67], 0 offset:356 ; 4-byte Folded Spill
	buffer_store_dword v118, off, s[64:67], 0 offset:384 ; 4-byte Folded Spill
	s_nop 0
	buffer_store_dword v119, off, s[64:67], 0 offset:388 ; 4-byte Folded Spill
	v_fma_f64 v[112:113], v[158:159], s[24:25], v[112:113]
	v_add_f64 v[8:9], v[112:113], v[8:9]
	v_fma_f64 v[112:113], v[160:161], s[24:25], -v[118:119]
	v_mul_f64 v[118:119], v[108:109], s[48:49]
	v_add_f64 v[10:11], v[112:113], v[10:11]
	v_mul_f64 v[112:113], v[110:111], s[48:49]
	buffer_store_dword v112, off, s[64:67], 0 offset:400 ; 4-byte Folded Spill
	s_nop 0
	buffer_store_dword v113, off, s[64:67], 0 offset:404 ; 4-byte Folded Spill
	buffer_store_dword v118, off, s[64:67], 0 offset:456 ; 4-byte Folded Spill
	s_nop 0
	buffer_store_dword v119, off, s[64:67], 0 offset:460 ; 4-byte Folded Spill
	s_mov_b32 s49, 0x3fe58eea
	s_mov_b32 s48, s44
	v_mul_f64 v[190:191], v[200:201], s[48:49]
	v_fma_f64 v[112:113], v[158:159], s[22:23], v[112:113]
	v_add_f64 v[80:81], v[112:113], v[80:81]
	v_fma_f64 v[112:113], v[160:161], s[22:23], -v[118:119]
	v_mul_f64 v[118:119], v[108:109], s[50:51]
	v_add_f64 v[82:83], v[112:113], v[82:83]
	v_mul_f64 v[112:113], v[110:111], s[50:51]
	buffer_store_dword v112, off, s[64:67], 0 offset:464 ; 4-byte Folded Spill
	s_nop 0
	buffer_store_dword v113, off, s[64:67], 0 offset:468 ; 4-byte Folded Spill
	buffer_store_dword v118, off, s[64:67], 0 offset:472 ; 4-byte Folded Spill
	s_nop 0
	buffer_store_dword v119, off, s[64:67], 0 offset:476 ; 4-byte Folded Spill
	v_fma_f64 v[112:113], v[158:159], s[20:21], v[112:113]
	v_add_f64 v[84:85], v[112:113], v[84:85]
	v_fma_f64 v[112:113], v[160:161], s[20:21], -v[118:119]
	v_mul_f64 v[118:119], v[108:109], s[48:49]
	v_add_f64 v[86:87], v[112:113], v[86:87]
	v_mul_f64 v[112:113], v[110:111], s[48:49]
	buffer_store_dword v112, off, s[64:67], 0 offset:488 ; 4-byte Folded Spill
	s_nop 0
	buffer_store_dword v113, off, s[64:67], 0 offset:492 ; 4-byte Folded Spill
	buffer_store_dword v118, off, s[64:67], 0 offset:496 ; 4-byte Folded Spill
	s_nop 0
	buffer_store_dword v119, off, s[64:67], 0 offset:500 ; 4-byte Folded Spill
	v_fma_f64 v[112:113], v[158:159], s[16:17], v[112:113]
	v_add_f64 v[88:89], v[112:113], v[88:89]
	v_fma_f64 v[112:113], v[160:161], s[16:17], -v[118:119]
	v_add_f64 v[90:91], v[112:113], v[90:91]
	v_mul_f64 v[112:113], v[110:111], s[36:37]
	buffer_store_dword v112, off, s[64:67], 0 offset:504 ; 4-byte Folded Spill
	s_nop 0
	buffer_store_dword v113, off, s[64:67], 0 offset:508 ; 4-byte Folded Spill
	v_fma_f64 v[112:113], v[158:159], s[2:3], v[112:113]
	v_add_f64 v[92:93], v[112:113], v[92:93]
	v_fma_f64 v[112:113], v[160:161], s[2:3], -v[209:210]
	v_add_f64 v[94:95], v[112:113], v[94:95]
	v_mul_f64 v[112:113], v[110:111], s[40:41]
	v_mul_f64 v[110:111], v[110:111], s[34:35]
	v_fma_f64 v[118:119], v[158:159], s[10:11], -v[112:113]
	v_fma_f64 v[112:113], v[158:159], s[10:11], v[112:113]
	v_add_f64 v[98:99], v[118:119], v[98:99]
	v_mul_f64 v[118:119], v[108:109], s[40:41]
	v_add_f64 v[96:97], v[112:113], v[96:97]
	v_mul_f64 v[108:109], v[108:109], s[34:35]
	v_fma_f64 v[112:113], v[160:161], s[10:11], -v[118:119]
	v_fma_f64 v[120:121], v[160:161], s[10:11], v[118:119]
	v_add_f64 v[100:101], v[112:113], v[100:101]
	v_fma_f64 v[112:113], v[158:159], s[18:19], -v[110:111]
	v_fma_f64 v[110:111], v[158:159], s[18:19], v[110:111]
	v_add_f64 v[102:103], v[120:121], v[102:103]
	v_add_f64 v[104:105], v[112:113], v[104:105]
	v_fma_f64 v[112:113], v[160:161], s[18:19], v[108:109]
	v_add_f64 v[2:3], v[110:111], v[2:3]
	v_fma_f64 v[108:109], v[160:161], s[18:19], -v[108:109]
	v_add_f64 v[110:111], v[74:75], -v[46:47]
	v_add_f64 v[106:107], v[112:113], v[106:107]
	v_add_f64 v[0:1], v[108:109], v[0:1]
	v_add_f64 v[108:109], v[72:73], -v[44:45]
	v_mul_f64 v[112:113], v[110:111], s[40:41]
	buffer_store_dword v112, off, s[64:67], 0 offset:416 ; 4-byte Folded Spill
	s_nop 0
	buffer_store_dword v113, off, s[64:67], 0 offset:420 ; 4-byte Folded Spill
	v_mul_f64 v[118:119], v[108:109], s[40:41]
	buffer_store_dword v118, off, s[64:67], 0 offset:424 ; 4-byte Folded Spill
	s_nop 0
	buffer_store_dword v119, off, s[64:67], 0 offset:428 ; 4-byte Folded Spill
	v_mul_f64 v[205:206], v[110:111], s[50:51]
	v_mul_f64 v[217:218], v[108:109], s[50:51]
	;; [unrolled: 1-line block ×8, first 2 shown]
	v_fma_f64 v[112:113], v[180:181], s[10:11], v[112:113]
	v_add_f64 v[4:5], v[112:113], v[4:5]
	v_fma_f64 v[112:113], v[182:183], s[10:11], -v[118:119]
	v_mul_f64 v[118:119], v[108:109], s[38:39]
	v_add_f64 v[6:7], v[112:113], v[6:7]
	v_mul_f64 v[112:113], v[110:111], s[38:39]
	buffer_store_dword v112, off, s[64:67], 0 offset:440 ; 4-byte Folded Spill
	s_nop 0
	buffer_store_dword v113, off, s[64:67], 0 offset:444 ; 4-byte Folded Spill
	buffer_store_dword v118, off, s[64:67], 0 offset:480 ; 4-byte Folded Spill
	s_nop 0
	buffer_store_dword v119, off, s[64:67], 0 offset:484 ; 4-byte Folded Spill
	v_fma_f64 v[112:113], v[180:181], s[22:23], v[112:113]
	v_add_f64 v[8:9], v[112:113], v[8:9]
	v_fma_f64 v[112:113], v[182:183], s[22:23], -v[118:119]
	v_add_f64 v[10:11], v[112:113], v[10:11]
	v_fma_f64 v[112:113], v[180:181], s[20:21], v[205:206]
	v_add_f64 v[80:81], v[112:113], v[80:81]
	v_fma_f64 v[112:113], v[182:183], s[20:21], -v[217:218]
	v_add_f64 v[82:83], v[112:113], v[82:83]
	;; [unrolled: 4-line block ×5, first 2 shown]
	v_mul_f64 v[112:113], v[110:111], s[52:53]
	v_mul_f64 v[110:111], v[110:111], s[48:49]
	v_fma_f64 v[118:119], v[180:181], s[24:25], -v[112:113]
	v_fma_f64 v[112:113], v[180:181], s[24:25], v[112:113]
	v_add_f64 v[98:99], v[118:119], v[98:99]
	v_mul_f64 v[118:119], v[108:109], s[52:53]
	v_add_f64 v[96:97], v[112:113], v[96:97]
	v_mul_f64 v[108:109], v[108:109], s[48:49]
	v_fma_f64 v[120:121], v[182:183], s[24:25], v[118:119]
	v_fma_f64 v[112:113], v[182:183], s[24:25], -v[118:119]
	v_add_f64 v[118:119], v[76:77], -v[40:41]
	v_add_f64 v[102:103], v[120:121], v[102:103]
	v_add_f64 v[100:101], v[112:113], v[100:101]
	v_fma_f64 v[112:113], v[180:181], s[16:17], -v[110:111]
	v_add_f64 v[120:121], v[78:79], -v[42:43]
	v_mul_f64 v[207:208], v[118:119], s[26:27]
	v_mul_f64 v[223:224], v[118:119], s[54:55]
	;; [unrolled: 1-line block ×4, first 2 shown]
	v_fma_f64 v[110:111], v[180:181], s[16:17], v[110:111]
	v_add_f64 v[104:105], v[112:113], v[104:105]
	v_fma_f64 v[112:113], v[182:183], s[16:17], v[108:109]
	v_fma_f64 v[108:109], v[182:183], s[16:17], -v[108:109]
	v_mul_f64 v[202:203], v[120:121], s[26:27]
	v_mul_f64 v[215:216], v[120:121], s[54:55]
	;; [unrolled: 1-line block ×4, first 2 shown]
	v_add_f64 v[2:3], v[110:111], v[2:3]
	v_mul_f64 v[110:111], v[118:119], s[38:39]
	v_add_f64 v[106:107], v[112:113], v[106:107]
	v_add_f64 v[0:1], v[108:109], v[0:1]
	v_fma_f64 v[108:109], v[211:212], s[20:21], v[202:203]
	s_mov_b32 s43, 0x3fefdd0d
	s_mov_b32 s42, s40
	v_mul_f64 v[128:129], v[118:119], s[42:43]
	v_add_f64 v[4:5], v[108:109], v[4:5]
	v_fma_f64 v[108:109], v[213:214], s[20:21], -v[207:208]
	v_add_f64 v[6:7], v[108:109], v[6:7]
	v_fma_f64 v[108:109], v[211:212], s[18:19], v[215:216]
	v_add_f64 v[8:9], v[108:109], v[8:9]
	v_fma_f64 v[108:109], v[213:214], s[18:19], -v[223:224]
	v_add_f64 v[10:11], v[108:109], v[10:11]
	v_fma_f64 v[108:109], v[211:212], s[16:17], v[239:240]
	;; [unrolled: 4-line block ×3, first 2 shown]
	v_add_f64 v[84:85], v[108:109], v[84:85]
	v_fma_f64 v[108:109], v[213:214], s[4:5], -v[251:252]
	v_add_f64 v[86:87], v[108:109], v[86:87]
	v_mul_f64 v[108:109], v[120:121], s[38:39]
	v_fma_f64 v[112:113], v[211:212], s[22:23], v[108:109]
	v_add_f64 v[88:89], v[112:113], v[88:89]
	v_fma_f64 v[112:113], v[213:214], s[22:23], -v[110:111]
	v_add_f64 v[90:91], v[112:113], v[90:91]
	v_mul_f64 v[112:113], v[120:121], s[42:43]
	v_fma_f64 v[122:123], v[211:212], s[10:11], v[112:113]
	v_add_f64 v[92:93], v[122:123], v[92:93]
	v_fma_f64 v[122:123], v[213:214], s[10:11], -v[128:129]
	v_add_f64 v[94:95], v[122:123], v[94:95]
	v_mul_f64 v[122:123], v[120:121], s[36:37]
	v_mul_f64 v[120:121], v[120:121], s[28:29]
	v_fma_f64 v[124:125], v[211:212], s[2:3], -v[122:123]
	v_fma_f64 v[122:123], v[211:212], s[2:3], v[122:123]
	v_add_f64 v[98:99], v[124:125], v[98:99]
	v_mul_f64 v[124:125], v[118:119], s[36:37]
	v_add_f64 v[96:97], v[122:123], v[96:97]
	v_mul_f64 v[118:119], v[118:119], s[28:29]
	v_fma_f64 v[122:123], v[213:214], s[2:3], -v[124:125]
	v_fma_f64 v[126:127], v[213:214], s[2:3], v[124:125]
	v_add_f64 v[100:101], v[122:123], v[100:101]
	v_fma_f64 v[122:123], v[211:212], s[24:25], -v[120:121]
	v_fma_f64 v[120:121], v[211:212], s[24:25], v[120:121]
	v_add_f64 v[102:103], v[126:127], v[102:103]
	v_add_f64 v[104:105], v[122:123], v[104:105]
	v_fma_f64 v[122:123], v[213:214], s[24:25], v[118:119]
	v_add_f64 v[2:3], v[120:121], v[2:3]
	v_fma_f64 v[118:119], v[213:214], s[24:25], -v[118:119]
	v_add_f64 v[120:121], v[26:27], -v[38:39]
	v_add_f64 v[106:107], v[122:123], v[106:107]
	v_add_f64 v[0:1], v[118:119], v[0:1]
	v_add_f64 v[118:119], v[24:25], -v[36:37]
	v_mul_f64 v[235:236], v[120:121], s[28:29]
	v_mul_f64 v[243:244], v[120:121], s[50:51]
	;; [unrolled: 1-line block ×7, first 2 shown]
	v_fma_f64 v[122:123], v[231:232], s[24:25], v[235:236]
	v_mul_f64 v[253:254], v[118:119], s[50:51]
	v_mul_f64 v[130:131], v[118:119], s[36:37]
	;; [unrolled: 1-line block ×5, first 2 shown]
	v_add_f64 v[4:5], v[122:123], v[4:5]
	v_fma_f64 v[122:123], v[233:234], s[24:25], -v[237:238]
	v_add_f64 v[6:7], v[122:123], v[6:7]
	v_fma_f64 v[122:123], v[231:232], s[20:21], v[243:244]
	v_add_f64 v[8:9], v[122:123], v[8:9]
	v_fma_f64 v[122:123], v[233:234], s[20:21], -v[253:254]
	v_add_f64 v[10:11], v[122:123], v[10:11]
	v_fma_f64 v[122:123], v[231:232], s[2:3], v[249:250]
	;; [unrolled: 4-line block ×5, first 2 shown]
	v_add_f64 v[92:93], v[122:123], v[92:93]
	v_fma_f64 v[122:123], v[233:234], s[16:17], -v[166:167]
	v_add_f64 v[94:95], v[122:123], v[94:95]
	v_mul_f64 v[122:123], v[120:121], s[38:39]
	v_mul_f64 v[120:121], v[120:121], s[30:31]
	v_fma_f64 v[124:125], v[231:232], s[22:23], -v[122:123]
	v_fma_f64 v[122:123], v[231:232], s[22:23], v[122:123]
	v_add_f64 v[98:99], v[124:125], v[98:99]
	v_mul_f64 v[124:125], v[118:119], s[38:39]
	v_add_f64 v[96:97], v[122:123], v[96:97]
	v_mul_f64 v[118:119], v[118:119], s[30:31]
	v_fma_f64 v[122:123], v[233:234], s[22:23], -v[124:125]
	v_fma_f64 v[126:127], v[233:234], s[22:23], v[124:125]
	v_mul_f64 v[124:125], v[146:147], s[34:35]
	v_add_f64 v[100:101], v[122:123], v[100:101]
	v_fma_f64 v[122:123], v[231:232], s[4:5], -v[120:121]
	v_fma_f64 v[120:121], v[231:232], s[4:5], v[120:121]
	v_add_f64 v[102:103], v[126:127], v[102:103]
	v_add_f64 v[104:105], v[122:123], v[104:105]
	v_fma_f64 v[122:123], v[233:234], s[4:5], v[118:119]
	v_fma_f64 v[118:119], v[233:234], s[4:5], -v[118:119]
	v_add_f64 v[2:3], v[120:121], v[2:3]
	v_mul_f64 v[120:121], v[148:149], s[34:35]
	v_add_f64 v[106:107], v[122:123], v[106:107]
	v_add_f64 v[0:1], v[118:119], v[0:1]
	;; [unrolled: 1-line block ×4, first 2 shown]
	v_fma_f64 v[126:127], v[118:119], s[18:19], v[120:121]
	v_add_f64 v[162:163], v[126:127], v[4:5]
	v_fma_f64 v[4:5], v[122:123], s[18:19], -v[124:125]
	v_mul_f64 v[126:127], v[148:149], s[30:31]
	v_add_f64 v[170:171], v[4:5], v[6:7]
	v_fma_f64 v[4:5], v[118:119], s[4:5], v[126:127]
	v_add_f64 v[8:9], v[4:5], v[8:9]
	v_fma_f64 v[4:5], v[122:123], s[4:5], -v[136:137]
	v_add_f64 v[10:11], v[4:5], v[10:11]
	v_fma_f64 v[4:5], v[118:119], s[10:11], v[138:139]
	v_add_f64 v[80:81], v[4:5], v[80:81]
	v_fma_f64 v[4:5], v[122:123], s[10:11], -v[164:165]
	;; [unrolled: 4-line block ×5, first 2 shown]
	v_add_f64 v[94:95], v[4:5], v[94:95]
	v_mul_f64 v[4:5], v[148:149], s[48:49]
	v_fma_f64 v[6:7], v[118:119], s[16:17], -v[4:5]
	v_fma_f64 v[4:5], v[118:119], s[16:17], v[4:5]
	v_add_f64 v[84:85], v[6:7], v[98:99]
	v_mul_f64 v[98:99], v[146:147], s[48:49]
	v_fma_f64 v[6:7], v[122:123], s[16:17], v[98:99]
	v_add_f64 v[86:87], v[6:7], v[102:103]
	v_add_f64 v[6:7], v[4:5], v[96:97]
	v_mul_f64 v[96:97], v[148:149], s[26:27]
	v_fma_f64 v[4:5], v[122:123], s[16:17], -v[98:99]
	v_add_f64 v[148:149], v[22:23], v[30:31]
	v_fma_f64 v[98:99], v[118:119], s[20:21], -v[96:97]
	v_add_f64 v[4:5], v[4:5], v[100:101]
	v_fma_f64 v[96:97], v[118:119], s[20:21], v[96:97]
	v_add_f64 v[100:101], v[98:99], v[104:105]
	v_mul_f64 v[98:99], v[146:147], s[26:27]
	v_add_f64 v[104:105], v[96:97], v[2:3]
	v_add_f64 v[146:147], v[20:21], v[28:29]
	v_fma_f64 v[102:103], v[122:123], s[20:21], v[98:99]
	v_fma_f64 v[2:3], v[122:123], s[20:21], -v[98:99]
	v_add_f64 v[102:103], v[102:103], v[106:107]
	v_add_f64 v[106:107], v[2:3], v[0:1]
	v_add_f64 v[0:1], v[20:21], -v[28:29]
	v_fma_f64 v[2:3], v[146:147], s[22:23], v[152:153]
	v_mul_f64 v[154:155], v[0:1], s[38:39]
	v_add_f64 v[96:97], v[2:3], v[162:163]
	v_mul_f64 v[162:163], v[200:201], s[46:47]
	v_mul_f64 v[176:177], v[0:1], s[34:35]
	;; [unrolled: 1-line block ×4, first 2 shown]
	v_fma_f64 v[2:3], v[148:149], s[22:23], -v[154:155]
	v_add_f64 v[98:99], v[2:3], v[170:171]
	v_mul_f64 v[170:171], v[0:1], s[46:47]
	v_fma_f64 v[2:3], v[146:147], s[2:3], v[162:163]
	buffer_store_dword v96, off, s[64:67], 0 offset:4 ; 4-byte Folded Spill
	s_nop 0
	buffer_store_dword v97, off, s[64:67], 0 offset:8 ; 4-byte Folded Spill
	buffer_store_dword v98, off, s[64:67], 0 offset:12 ; 4-byte Folded Spill
	;; [unrolled: 1-line block ×3, first 2 shown]
	v_add_f64 v[8:9], v[2:3], v[8:9]
	v_fma_f64 v[2:3], v[148:149], s[2:3], -v[170:171]
	v_add_f64 v[10:11], v[2:3], v[10:11]
	v_fma_f64 v[2:3], v[146:147], s[18:19], v[172:173]
	buffer_store_dword v8, off, s[64:67], 0 offset:28 ; 4-byte Folded Spill
	s_nop 0
	buffer_store_dword v9, off, s[64:67], 0 offset:32 ; 4-byte Folded Spill
	buffer_store_dword v10, off, s[64:67], 0 offset:36 ; 4-byte Folded Spill
	;; [unrolled: 1-line block ×3, first 2 shown]
	v_add_f64 v[8:9], v[2:3], v[80:81]
	v_fma_f64 v[2:3], v[148:149], s[18:19], -v[176:177]
	v_add_f64 v[10:11], v[2:3], v[82:83]
	v_fma_f64 v[2:3], v[146:147], s[16:17], v[190:191]
	buffer_store_dword v8, off, s[64:67], 0 offset:44 ; 4-byte Folded Spill
	s_nop 0
	buffer_store_dword v9, off, s[64:67], 0 offset:48 ; 4-byte Folded Spill
	buffer_store_dword v10, off, s[64:67], 0 offset:52 ; 4-byte Folded Spill
	;; [unrolled: 1-line block ×3, first 2 shown]
	v_add_f64 v[80:81], v[2:3], v[194:195]
	v_fma_f64 v[2:3], v[148:149], s[16:17], -v[192:193]
	v_mul_f64 v[194:195], v[200:201], s[28:29]
	s_waitcnt vmcnt(0) lgkmcnt(0)
	s_barrier
	v_add_f64 v[82:83], v[2:3], v[196:197]
	v_mul_f64 v[196:197], v[0:1], s[28:29]
	v_fma_f64 v[2:3], v[146:147], s[24:25], v[194:195]
	v_add_f64 v[88:89], v[2:3], v[88:89]
	v_fma_f64 v[2:3], v[148:149], s[24:25], -v[196:197]
	v_add_f64 v[90:91], v[2:3], v[90:91]
	v_mul_f64 v[2:3], v[200:201], s[30:31]
	v_fma_f64 v[8:9], v[146:147], s[4:5], v[2:3]
	v_add_f64 v[92:93], v[8:9], v[92:93]
	v_fma_f64 v[8:9], v[148:149], s[4:5], -v[198:199]
	v_add_f64 v[94:95], v[8:9], v[94:95]
	v_mul_f64 v[8:9], v[200:201], s[26:27]
	v_fma_f64 v[10:11], v[146:147], s[20:21], -v[8:9]
	v_fma_f64 v[8:9], v[146:147], s[20:21], v[8:9]
	v_add_f64 v[84:85], v[10:11], v[84:85]
	v_mul_f64 v[10:11], v[0:1], s[26:27]
	v_mul_f64 v[0:1], v[0:1], s[42:43]
	v_fma_f64 v[96:97], v[148:149], s[20:21], v[10:11]
	v_add_f64 v[86:87], v[96:97], v[86:87]
	v_add_f64 v[96:97], v[8:9], v[6:7]
	v_fma_f64 v[6:7], v[148:149], s[20:21], -v[10:11]
	v_add_f64 v[98:99], v[6:7], v[4:5]
	v_mul_f64 v[4:5], v[200:201], s[42:43]
	v_fma_f64 v[6:7], v[146:147], s[10:11], -v[4:5]
	v_fma_f64 v[4:5], v[146:147], s[10:11], v[4:5]
	v_add_f64 v[100:101], v[6:7], v[100:101]
	v_fma_f64 v[6:7], v[148:149], s[10:11], v[0:1]
	v_fma_f64 v[0:1], v[148:149], s[10:11], -v[0:1]
	v_add_f64 v[104:105], v[4:5], v[104:105]
	v_add_f64 v[102:103], v[6:7], v[102:103]
	;; [unrolled: 1-line block ×3, first 2 shown]
	buffer_load_dword v0, off, s[64:67], 0  ; 4-byte Folded Reload
	s_waitcnt vmcnt(0)
	v_mul_lo_u16_e32 v0, 17, v0
	buffer_store_dword v0, off, s[64:67], 0 offset:60 ; 4-byte Folded Spill
	s_and_saveexec_b64 s[26:27], s[0:1]
	s_cbranch_execz .LBB0_7
; %bb.6:
	v_add_f64 v[4:5], v[12:13], v[60:61]
	v_add_f64 v[0:1], v[14:15], v[62:63]
	v_mul_f64 v[62:63], v[182:183], s[18:19]
	v_mul_f64 v[60:61], v[213:214], s[10:11]
	;; [unrolled: 1-line block ×5, first 2 shown]
	v_add_f64 v[4:5], v[4:5], v[64:65]
	v_add_f64 v[0:1], v[0:1], v[66:67]
	v_mul_f64 v[66:67], v[134:135], s[20:21]
	v_mul_f64 v[64:65], v[160:161], s[2:3]
	v_add_f64 v[62:63], v[241:242], v[62:63]
	v_add_f64 v[60:61], v[128:129], v[60:61]
	;; [unrolled: 1-line block ×5, first 2 shown]
	buffer_load_dword v68, off, s[64:67], 0 offset:448 ; 4-byte Folded Reload
	buffer_load_dword v69, off, s[64:67], 0 offset:452 ; 4-byte Folded Reload
	v_add_f64 v[0:1], v[0:1], v[70:71]
	buffer_load_dword v70, off, s[64:67], 0 offset:304 ; 4-byte Folded Reload
	buffer_load_dword v71, off, s[64:67], 0 offset:308 ; 4-byte Folded Reload
	v_add_f64 v[64:65], v[209:210], v[64:65]
	v_mul_f64 v[128:129], v[233:234], s[2:3]
	v_add_f64 v[6:7], v[198:199], v[6:7]
	v_mul_f64 v[198:199], v[148:149], s[2:3]
	v_add_f64 v[4:5], v[4:5], v[72:73]
	v_add_f64 v[0:1], v[0:1], v[74:75]
	;; [unrolled: 1-line block ×3, first 2 shown]
	v_mul_f64 v[130:131], v[122:123], s[10:11]
	v_add_f64 v[4:5], v[4:5], v[76:77]
	v_add_f64 v[0:1], v[0:1], v[78:79]
	v_add_f64 v[130:131], v[164:165], v[130:131]
	v_add_f64 v[4:5], v[4:5], v[24:25]
	v_add_f64 v[0:1], v[0:1], v[26:27]
	v_add_f64 v[4:5], v[4:5], v[16:17]
	v_add_f64 v[0:1], v[0:1], v[18:19]
	v_add_f64 v[4:5], v[4:5], v[20:21]
	v_add_f64 v[0:1], v[0:1], v[22:23]
	v_add_f64 v[4:5], v[4:5], v[28:29]
	v_add_f64 v[0:1], v[0:1], v[30:31]
	v_add_f64 v[4:5], v[4:5], v[32:33]
	v_add_f64 v[0:1], v[0:1], v[34:35]
	v_add_f64 v[4:5], v[4:5], v[36:37]
	v_add_f64 v[0:1], v[0:1], v[38:39]
	v_add_f64 v[4:5], v[4:5], v[40:41]
	v_add_f64 v[0:1], v[0:1], v[42:43]
	v_add_f64 v[4:5], v[4:5], v[44:45]
	s_waitcnt vmcnt(2)
	v_add_f64 v[66:67], v[68:69], v[66:67]
	v_mul_f64 v[68:69], v[116:117], s[24:25]
	v_add_f64 v[0:1], v[0:1], v[46:47]
	v_add_f64 v[4:5], v[4:5], v[48:49]
	s_waitcnt vmcnt(0)
	v_add_f64 v[68:69], v[70:71], v[68:69]
	v_mul_f64 v[70:71], v[146:147], s[4:5]
	v_add_f64 v[0:1], v[0:1], v[50:51]
	v_add_f64 v[4:5], v[4:5], v[52:53]
	v_add_f64 v[70:71], v[70:71], -v[2:3]
	v_add_f64 v[2:3], v[14:15], v[68:69]
	buffer_load_dword v68, off, s[64:67], 0 offset:504 ; 4-byte Folded Reload
	buffer_load_dword v69, off, s[64:67], 0 offset:508 ; 4-byte Folded Reload
	;; [unrolled: 1-line block ×6, first 2 shown]
	v_add_f64 v[0:1], v[0:1], v[54:55]
	v_add_f64 v[2:3], v[66:67], v[2:3]
	v_mul_f64 v[66:67], v[118:119], s[22:23]
	v_add_f64 v[2:3], v[64:65], v[2:3]
	v_mul_f64 v[64:65], v[158:159], s[2:3]
	v_add_f64 v[66:67], v[66:67], -v[186:187]
	v_mul_f64 v[186:187], v[213:214], s[18:19]
	v_add_f64 v[2:3], v[62:63], v[2:3]
	v_add_f64 v[186:187], v[223:224], v[186:187]
	;; [unrolled: 1-line block ×3, first 2 shown]
	v_mul_f64 v[60:61], v[231:232], s[16:17]
	v_add_f64 v[2:3], v[10:11], v[2:3]
	v_add_f64 v[60:61], v[60:61], -v[156:157]
	v_mul_f64 v[156:157], v[160:161], s[4:5]
	v_add_f64 v[2:3], v[8:9], v[2:3]
	v_mul_f64 v[8:9], v[182:183], s[4:5]
	v_add_f64 v[2:3], v[6:7], v[2:3]
	v_add_f64 v[8:9], v[227:228], v[8:9]
	s_waitcnt vmcnt(4)
	v_add_f64 v[64:65], v[64:65], -v[68:69]
	v_mul_f64 v[68:69], v[114:115], s[24:25]
	s_waitcnt vmcnt(2)
	v_add_f64 v[68:69], v[68:69], -v[72:73]
	v_mul_f64 v[72:73], v[132:133], s[20:21]
	v_add_f64 v[62:63], v[12:13], v[68:69]
	s_waitcnt vmcnt(0)
	v_add_f64 v[72:73], v[72:73], -v[74:75]
	v_mul_f64 v[68:69], v[180:181], s[18:19]
	v_add_f64 v[62:63], v[72:73], v[62:63]
	v_add_f64 v[68:69], v[68:69], -v[229:230]
	v_add_f64 v[62:63], v[64:65], v[62:63]
	v_mul_f64 v[64:65], v[211:212], s[10:11]
	v_add_f64 v[62:63], v[68:69], v[62:63]
	buffer_load_dword v68, off, s[64:67], 0 offset:496 ; 4-byte Folded Reload
	buffer_load_dword v69, off, s[64:67], 0 offset:500 ; 4-byte Folded Reload
	v_add_f64 v[64:65], v[64:65], -v[112:113]
	v_add_f64 v[62:63], v[64:65], v[62:63]
	v_mul_f64 v[64:65], v[160:161], s[16:17]
	v_add_f64 v[10:11], v[60:61], v[62:63]
	buffer_load_dword v62, off, s[64:67], 0 offset:256 ; 4-byte Folded Reload
	buffer_load_dword v63, off, s[64:67], 0 offset:260 ; 4-byte Folded Reload
	v_mul_f64 v[60:61], v[116:117], s[20:21]
	s_waitcnt vmcnt(2)
	v_add_f64 v[64:65], v[68:69], v[64:65]
	buffer_load_dword v68, off, s[64:67], 0 offset:408 ; 4-byte Folded Reload
	buffer_load_dword v69, off, s[64:67], 0 offset:412 ; 4-byte Folded Reload
	s_waitcnt vmcnt(2)
	v_add_f64 v[60:61], v[62:63], v[60:61]
	v_mul_f64 v[62:63], v[134:135], s[18:19]
	v_add_f64 v[60:61], v[14:15], v[60:61]
	s_waitcnt vmcnt(0)
	v_add_f64 v[62:63], v[68:69], v[62:63]
	v_add_f64 v[60:61], v[62:63], v[60:61]
	v_add_f64 v[62:63], v[66:67], v[10:11]
	v_add_f64 v[10:11], v[64:65], v[60:61]
	buffer_load_dword v64, off, s[64:67], 0 offset:488 ; 4-byte Folded Reload
	buffer_load_dword v65, off, s[64:67], 0 offset:492 ; 4-byte Folded Reload
	;; [unrolled: 1-line block ×6, first 2 shown]
	v_mul_f64 v[60:61], v[213:214], s[22:23]
	v_add_f64 v[8:9], v[8:9], v[10:11]
	v_mul_f64 v[10:11], v[233:234], s[10:11]
	v_add_f64 v[60:61], v[110:111], v[60:61]
	v_add_f64 v[10:11], v[150:151], v[10:11]
	v_mul_f64 v[150:151], v[158:159], s[4:5]
	v_add_f64 v[8:9], v[60:61], v[8:9]
	v_mul_f64 v[60:61], v[122:123], s[2:3]
	v_add_f64 v[8:9], v[10:11], v[8:9]
	v_add_f64 v[60:61], v[184:185], v[60:61]
	v_mul_f64 v[10:11], v[148:149], s[24:25]
	v_mul_f64 v[184:185], v[211:212], s[18:19]
	v_add_f64 v[8:9], v[60:61], v[8:9]
	v_mul_f64 v[60:61], v[158:159], s[16:17]
	v_add_f64 v[10:11], v[196:197], v[10:11]
	v_mul_f64 v[196:197], v[148:149], s[22:23]
	v_add_f64 v[6:7], v[10:11], v[8:9]
	s_waitcnt vmcnt(4)
	v_add_f64 v[60:61], v[60:61], -v[64:65]
	v_mul_f64 v[64:65], v[114:115], s[20:21]
	s_waitcnt vmcnt(2)
	v_add_f64 v[64:65], v[64:65], -v[66:67]
	v_mul_f64 v[66:67], v[132:133], s[18:19]
	v_add_f64 v[64:65], v[12:13], v[64:65]
	s_waitcnt vmcnt(0)
	v_add_f64 v[66:67], v[66:67], -v[68:69]
	buffer_load_dword v68, off, s[64:67], 0 offset:472 ; 4-byte Folded Reload
	buffer_load_dword v69, off, s[64:67], 0 offset:476 ; 4-byte Folded Reload
	;; [unrolled: 1-line block ×10, first 2 shown]
	v_add_f64 v[64:65], v[66:67], v[64:65]
	v_mul_f64 v[66:67], v[180:181], s[4:5]
	v_add_f64 v[60:61], v[60:61], v[64:65]
	v_mul_f64 v[64:65], v[211:212], s[22:23]
	v_add_f64 v[66:67], v[66:67], -v[225:226]
	v_add_f64 v[64:65], v[64:65], -v[108:109]
	buffer_load_dword v108, off, s[64:67], 0 offset:368 ; 4-byte Folded Reload
	buffer_load_dword v109, off, s[64:67], 0 offset:372 ; 4-byte Folded Reload
	v_add_f64 v[60:61], v[66:67], v[60:61]
	v_mul_f64 v[66:67], v[231:232], s[10:11]
	v_add_f64 v[60:61], v[64:65], v[60:61]
	v_add_f64 v[66:67], v[66:67], -v[144:145]
	v_mul_f64 v[64:65], v[118:119], s[2:3]
	v_mul_f64 v[144:145], v[134:135], s[16:17]
	v_add_f64 v[60:61], v[66:67], v[60:61]
	v_add_f64 v[64:65], v[64:65], -v[178:179]
	v_mul_f64 v[66:67], v[146:147], s[24:25]
	v_mul_f64 v[178:179], v[182:183], s[22:23]
	v_add_f64 v[60:61], v[64:65], v[60:61]
	v_mul_f64 v[64:65], v[160:161], s[20:21]
	v_add_f64 v[66:67], v[66:67], -v[194:195]
	s_waitcnt vmcnt(10)
	v_add_f64 v[64:65], v[68:69], v[64:65]
	v_mul_f64 v[68:69], v[116:117], s[10:11]
	s_waitcnt vmcnt(8)
	v_add_f64 v[68:69], v[72:73], v[68:69]
	v_mul_f64 v[72:73], v[134:135], s[22:23]
	v_add_f64 v[68:69], v[14:15], v[68:69]
	s_waitcnt vmcnt(6)
	v_add_f64 v[72:73], v[74:75], v[72:73]
	v_mul_f64 v[74:75], v[158:159], s[20:21]
	v_add_f64 v[68:69], v[72:73], v[68:69]
	s_waitcnt vmcnt(4)
	v_add_f64 v[74:75], v[74:75], -v[76:77]
	v_mul_f64 v[76:77], v[114:115], s[10:11]
	v_mul_f64 v[72:73], v[182:183], s[2:3]
	v_add_f64 v[64:65], v[64:65], v[68:69]
	v_mul_f64 v[68:69], v[213:214], s[4:5]
	s_waitcnt vmcnt(2)
	v_add_f64 v[76:77], v[76:77], -v[78:79]
	v_mul_f64 v[78:79], v[132:133], s[22:23]
	v_add_f64 v[72:73], v[221:222], v[72:73]
	v_add_f64 v[68:69], v[251:252], v[68:69]
	;; [unrolled: 1-line block ×3, first 2 shown]
	s_waitcnt vmcnt(0)
	v_add_f64 v[78:79], v[78:79], -v[108:109]
	buffer_load_dword v108, off, s[64:67], 0 offset:456 ; 4-byte Folded Reload
	buffer_load_dword v109, off, s[64:67], 0 offset:460 ; 4-byte Folded Reload
	;; [unrolled: 1-line block ×10, first 2 shown]
	v_add_f64 v[64:65], v[72:73], v[64:65]
	v_mul_f64 v[72:73], v[233:234], s[18:19]
	v_add_f64 v[76:77], v[78:79], v[76:77]
	v_mul_f64 v[78:79], v[180:181], s[2:3]
	v_add_f64 v[64:65], v[68:69], v[64:65]
	v_add_f64 v[72:73], v[142:143], v[72:73]
	;; [unrolled: 1-line block ×3, first 2 shown]
	v_add_f64 v[78:79], v[78:79], -v[219:220]
	v_mul_f64 v[68:69], v[122:123], s[24:25]
	v_mul_f64 v[76:77], v[211:212], s[4:5]
	;; [unrolled: 1-line block ×3, first 2 shown]
	v_add_f64 v[64:65], v[72:73], v[64:65]
	v_mul_f64 v[72:73], v[148:149], s[16:17]
	v_add_f64 v[74:75], v[78:79], v[74:75]
	v_mul_f64 v[78:79], v[160:161], s[22:23]
	v_add_f64 v[68:69], v[174:175], v[68:69]
	v_add_f64 v[76:77], v[76:77], -v[247:248]
	v_mul_f64 v[174:175], v[180:181], s[22:23]
	v_add_f64 v[142:143], v[142:143], -v[239:240]
	v_mul_f64 v[160:161], v[160:161], s[24:25]
	v_add_f64 v[72:73], v[192:193], v[72:73]
	v_mul_f64 v[192:193], v[231:232], s[2:3]
	v_mul_f64 v[148:149], v[148:149], s[18:19]
	v_add_f64 v[64:65], v[68:69], v[64:65]
	v_mul_f64 v[68:69], v[231:232], s[18:19]
	v_add_f64 v[74:75], v[76:77], v[74:75]
	v_mul_f64 v[76:77], v[114:115], s[2:3]
	v_add_f64 v[26:27], v[192:193], -v[249:250]
	v_add_f64 v[24:25], v[176:177], v[148:149]
	v_add_f64 v[10:11], v[72:73], v[64:65]
	v_add_f64 v[68:69], v[68:69], -v[140:141]
	v_mul_f64 v[140:141], v[116:117], s[2:3]
	v_add_f64 v[68:69], v[68:69], v[74:75]
	v_mul_f64 v[74:75], v[114:115], s[16:17]
	v_mul_f64 v[114:115], v[114:115], s[4:5]
	s_waitcnt vmcnt(8)
	v_add_f64 v[78:79], v[108:109], v[78:79]
	v_mul_f64 v[108:109], v[116:117], s[4:5]
	v_mul_f64 v[116:117], v[116:117], s[16:17]
	s_waitcnt vmcnt(2)
	v_add_f64 v[114:115], v[114:115], -v[164:165]
	v_mul_f64 v[164:165], v[158:159], s[24:25]
	v_mul_f64 v[158:159], v[158:159], s[22:23]
	v_add_f64 v[108:109], v[110:111], v[108:109]
	v_mul_f64 v[110:111], v[134:135], s[24:25]
	v_add_f64 v[114:115], v[12:13], v[114:115]
	;; [unrolled: 2-line block ×3, first 2 shown]
	v_add_f64 v[110:111], v[112:113], v[110:111]
	v_mul_f64 v[112:113], v[118:119], s[24:25]
	v_add_f64 v[108:109], v[110:111], v[108:109]
	v_mul_f64 v[110:111], v[182:183], s[20:21]
	v_add_f64 v[112:113], v[112:113], -v[168:169]
	buffer_load_dword v168, off, s[64:67], 0 offset:96 ; 4-byte Folded Reload
	buffer_load_dword v169, off, s[64:67], 0 offset:100 ; 4-byte Folded Reload
	v_add_f64 v[78:79], v[78:79], v[108:109]
	v_add_f64 v[110:111], v[217:218], v[110:111]
	v_mul_f64 v[108:109], v[213:214], s[16:17]
	v_add_f64 v[68:69], v[112:113], v[68:69]
	v_mul_f64 v[112:113], v[180:181], s[20:21]
	v_add_f64 v[78:79], v[110:111], v[78:79]
	v_add_f64 v[108:109], v[245:246], v[108:109]
	v_mul_f64 v[110:111], v[146:147], s[16:17]
	v_add_f64 v[112:113], v[112:113], -v[205:206]
	v_add_f64 v[78:79], v[108:109], v[78:79]
	v_mul_f64 v[108:109], v[132:133], s[16:17]
	v_add_f64 v[110:111], v[110:111], -v[190:191]
	v_mul_f64 v[190:191], v[233:234], s[20:21]
	v_add_f64 v[78:79], v[128:129], v[78:79]
	v_mul_f64 v[128:129], v[132:133], s[10:11]
	v_mul_f64 v[132:133], v[132:133], s[24:25]
	v_add_f64 v[190:191], v[253:254], v[190:191]
	v_add_f64 v[72:73], v[130:131], v[78:79]
	s_waitcnt vmcnt(2)
	v_add_f64 v[132:133], v[132:133], -v[166:167]
	v_mul_f64 v[166:167], v[180:181], s[10:11]
	buffer_load_dword v180, off, s[64:67], 0 offset:400 ; 4-byte Folded Reload
	buffer_load_dword v181, off, s[64:67], 0 offset:404 ; 4-byte Folded Reload
	v_add_f64 v[114:115], v[132:133], v[114:115]
	v_mul_f64 v[132:133], v[231:232], s[24:25]
	s_waitcnt vmcnt(2)
	v_add_f64 v[116:117], v[168:169], v[116:117]
	v_mul_f64 v[168:169], v[182:183], s[10:11]
	buffer_load_dword v182, off, s[64:67], 0 offset:240 ; 4-byte Folded Reload
	buffer_load_dword v183, off, s[64:67], 0 offset:244 ; 4-byte Folded Reload
	;; [unrolled: 1-line block ×6, first 2 shown]
	v_add_f64 v[116:117], v[14:15], v[116:117]
	s_waitcnt vmcnt(6)
	v_add_f64 v[158:159], v[158:159], -v[180:181]
	v_mul_f64 v[180:181], v[211:212], s[20:21]
	v_add_f64 v[114:115], v[158:159], v[114:115]
	v_mul_f64 v[158:159], v[118:119], s[18:19]
	v_add_f64 v[112:113], v[112:113], v[114:115]
	;; [unrolled: 2-line block ×3, first 2 shown]
	v_add_f64 v[36:37], v[114:115], -v[152:153]
	v_add_f64 v[18:19], v[26:27], v[64:65]
	buffer_load_dword v64, off, s[64:67], 0 offset:72 ; 4-byte Folded Reload
	buffer_load_dword v65, off, s[64:67], 0 offset:76 ; 4-byte Folded Reload
	;; [unrolled: 1-line block ×6, first 2 shown]
	v_add_f64 v[26:27], v[170:171], v[198:199]
	s_waitcnt vmcnt(10)
	v_add_f64 v[134:135], v[182:183], v[134:135]
	v_mul_f64 v[182:183], v[213:214], s[20:21]
	s_waitcnt vmcnt(8)
	v_add_f64 v[160:161], v[188:189], v[160:161]
	v_mul_f64 v[188:189], v[233:234], s[24:25]
	;; [unrolled: 3-line block ×3, first 2 shown]
	v_mul_f64 v[122:123], v[122:123], s[4:5]
	v_add_f64 v[116:117], v[134:135], v[116:117]
	v_mul_f64 v[134:135], v[231:232], s[20:21]
	v_add_f64 v[78:79], v[136:137], v[122:123]
	v_add_f64 v[116:117], v[160:161], v[116:117]
	v_mul_f64 v[160:161], v[118:119], s[4:5]
	v_mul_f64 v[118:119], v[118:119], s[10:11]
	v_add_f64 v[116:117], v[178:179], v[116:117]
	v_mul_f64 v[178:179], v[146:147], s[2:3]
	v_add_f64 v[16:17], v[118:119], -v[138:139]
	v_mul_f64 v[146:147], v[146:147], s[18:19]
	v_add_f64 v[8:9], v[186:187], v[116:117]
	v_add_f64 v[112:113], v[146:147], -v[172:173]
	v_add_f64 v[8:9], v[190:191], v[8:9]
	v_add_f64 v[8:9], v[78:79], v[8:9]
	s_waitcnt vmcnt(4)
	v_add_f64 v[64:65], v[64:65], v[140:141]
	s_waitcnt vmcnt(2)
	v_add_f64 v[20:21], v[76:77], -v[20:21]
	s_waitcnt vmcnt(0)
	v_add_f64 v[22:23], v[74:75], -v[22:23]
	buffer_load_dword v74, off, s[64:67], 0 offset:176 ; 4-byte Folded Reload
	buffer_load_dword v75, off, s[64:67], 0 offset:180 ; 4-byte Folded Reload
	;; [unrolled: 1-line block ×4, first 2 shown]
	v_add_f64 v[14:15], v[14:15], v[64:65]
	buffer_load_dword v64, off, s[64:67], 0 offset:144 ; 4-byte Folded Reload
	buffer_load_dword v65, off, s[64:67], 0 offset:148 ; 4-byte Folded Reload
	v_add_f64 v[20:21], v[12:13], v[20:21]
	v_add_f64 v[12:13], v[12:13], v[22:23]
	buffer_load_dword v22, off, s[64:67], 0 offset:352 ; 4-byte Folded Reload
	buffer_load_dword v23, off, s[64:67], 0 offset:356 ; 4-byte Folded Reload
	;; [unrolled: 1-line block ×10, first 2 shown]
	s_waitcnt vmcnt(14)
	v_add_f64 v[74:75], v[128:129], -v[74:75]
	s_waitcnt vmcnt(12)
	v_add_f64 v[76:77], v[76:77], v[144:145]
	s_waitcnt vmcnt(10)
	v_add_f64 v[64:65], v[108:109], -v[64:65]
	v_add_f64 v[12:13], v[74:75], v[12:13]
	v_add_f64 v[14:15], v[76:77], v[14:15]
	s_waitcnt vmcnt(6)
	v_add_f64 v[28:29], v[28:29], v[156:157]
	v_add_f64 v[22:23], v[164:165], -v[22:23]
	s_waitcnt vmcnt(4)
	v_add_f64 v[30:31], v[150:151], -v[30:31]
	s_waitcnt vmcnt(2)
	v_add_f64 v[32:33], v[174:175], -v[32:33]
	v_add_f64 v[20:21], v[64:65], v[20:21]
	s_waitcnt vmcnt(0)
	v_add_f64 v[34:35], v[34:35], v[168:169]
	v_add_f64 v[14:15], v[28:29], v[14:15]
	buffer_load_dword v28, off, s[64:67], 0 offset:416 ; 4-byte Folded Reload
	buffer_load_dword v29, off, s[64:67], 0 offset:420 ; 4-byte Folded Reload
	v_add_f64 v[12:13], v[22:23], v[12:13]
	v_add_f64 v[22:23], v[184:185], -v[215:216]
	v_add_f64 v[20:21], v[30:31], v[20:21]
	v_add_f64 v[30:31], v[207:208], v[182:183]
	;; [unrolled: 1-line block ×3, first 2 shown]
	v_add_f64 v[34:35], v[180:181], -v[202:203]
	v_add_f64 v[12:13], v[32:33], v[12:13]
	v_add_f64 v[32:33], v[237:238], v[188:189]
	;; [unrolled: 1-line block ×3, first 2 shown]
	v_add_f64 v[30:31], v[132:133], -v[235:236]
	v_add_f64 v[12:13], v[22:23], v[12:13]
	v_add_f64 v[22:23], v[160:161], -v[126:127]
	v_add_f64 v[14:15], v[32:33], v[14:15]
	v_add_f64 v[32:33], v[158:159], -v[120:121]
	s_waitcnt vmcnt(0)
	v_add_f64 v[28:29], v[166:167], -v[28:29]
	v_add_f64 v[20:21], v[28:29], v[20:21]
	v_add_f64 v[28:29], v[134:135], -v[243:244]
	v_add_f64 v[20:21], v[34:35], v[20:21]
	v_add_f64 v[12:13], v[28:29], v[12:13]
	v_add_f64 v[28:29], v[178:179], -v[162:163]
	v_add_f64 v[34:35], v[124:125], v[194:195]
	v_add_f64 v[20:21], v[30:31], v[20:21]
	;; [unrolled: 1-line block ×11, first 2 shown]
	buffer_load_dword v28, off, s[64:67], 0 offset:60 ; 4-byte Folded Reload
	v_add_f64 v[18:19], v[26:27], v[8:9]
	v_add_f64 v[26:27], v[0:1], v[58:59]
	;; [unrolled: 1-line block ×7, first 2 shown]
	s_waitcnt vmcnt(0)
	v_lshlrev_b32_e32 v28, 4, v28
	ds_write_b128 v28, v[24:27]
	ds_write_b128 v28, v[20:23] offset:16
	ds_write_b128 v28, v[16:19] offset:32
	;; [unrolled: 1-line block ×13, first 2 shown]
	buffer_load_dword v0, off, s[64:67], 0 offset:44 ; 4-byte Folded Reload
	buffer_load_dword v1, off, s[64:67], 0 offset:48 ; 4-byte Folded Reload
	buffer_load_dword v2, off, s[64:67], 0 offset:52 ; 4-byte Folded Reload
	buffer_load_dword v3, off, s[64:67], 0 offset:56 ; 4-byte Folded Reload
	s_waitcnt vmcnt(0)
	ds_write_b128 v28, v[0:3] offset:224
	buffer_load_dword v0, off, s[64:67], 0 offset:28 ; 4-byte Folded Reload
	buffer_load_dword v1, off, s[64:67], 0 offset:32 ; 4-byte Folded Reload
	buffer_load_dword v2, off, s[64:67], 0 offset:36 ; 4-byte Folded Reload
	buffer_load_dword v3, off, s[64:67], 0 offset:40 ; 4-byte Folded Reload
	s_waitcnt vmcnt(0)
	ds_write_b128 v28, v[0:3] offset:240
	buffer_load_dword v0, off, s[64:67], 0 offset:4 ; 4-byte Folded Reload
	buffer_load_dword v1, off, s[64:67], 0 offset:8 ; 4-byte Folded Reload
	buffer_load_dword v2, off, s[64:67], 0 offset:12 ; 4-byte Folded Reload
	buffer_load_dword v3, off, s[64:67], 0 offset:16 ; 4-byte Folded Reload
	s_waitcnt vmcnt(0)
	ds_write_b128 v28, v[0:3] offset:256
.LBB0_7:
	s_or_b64 exec, exec, s[26:27]
	s_waitcnt vmcnt(0) lgkmcnt(0)
	s_barrier
	ds_read_b128 v[60:63], v255
	ds_read_b128 v[112:115], v255 offset:3536
	ds_read_b128 v[108:111], v255 offset:7072
	;; [unrolled: 1-line block ×6, first 2 shown]
	buffer_load_dword v192, off, s[64:67], 0 ; 4-byte Folded Reload
	s_movk_i32 s2, 0x66
	s_waitcnt vmcnt(0)
	v_cmp_gt_u16_e64 s[2:3], s2, v192
	s_and_saveexec_b64 s[4:5], s[2:3]
	s_cbranch_execz .LBB0_9
; %bb.8:
	ds_read_b128 v[84:87], v255 offset:1904
	ds_read_b128 v[100:103], v255 offset:5440
	ds_read_b128 v[104:107], v255 offset:8976
	ds_read_b128 v[96:99], v255 offset:12512
	ds_read_b128 v[92:95], v255 offset:16048
	ds_read_b128 v[88:91], v255 offset:19584
	ds_read_b128 v[80:83], v255 offset:23120
.LBB0_9:
	s_or_b64 exec, exec, s[4:5]
	s_movk_i32 s4, 0xf1
	v_mul_lo_u16_sdwa v0, v192, s4 dst_sel:DWORD dst_unused:UNUSED_PAD src0_sel:BYTE_0 src1_sel:DWORD
	v_lshrrev_b16_e32 v36, 12, v0
	v_mul_lo_u16_e32 v0, 17, v36
	v_sub_u16_e32 v0, v192, v0
	v_and_b32_e32 v37, 0xff, v0
	v_mul_u32_u24_e32 v0, 6, v37
	v_lshlrev_b32_e32 v0, 4, v0
	global_load_dwordx4 v[140:143], v0, s[8:9] offset:16
	global_load_dwordx4 v[144:147], v0, s[8:9]
	global_load_dwordx4 v[132:135], v0, s[8:9] offset:48
	global_load_dwordx4 v[136:139], v0, s[8:9] offset:32
	;; [unrolled: 1-line block ×4, first 2 shown]
	v_add_u16_e32 v0, 0x77, v192
	v_mul_lo_u16_sdwa v1, v0, s4 dst_sel:DWORD dst_unused:UNUSED_PAD src0_sel:BYTE_0 src1_sel:DWORD
	v_lshrrev_b16_e32 v1, 12, v1
	buffer_store_dword v1, off, s[64:67], 0 offset:64 ; 4-byte Folded Spill
	v_mul_lo_u16_e32 v1, 17, v1
	v_sub_u16_e32 v0, v0, v1
	v_and_b32_e32 v0, 0xff, v0
	buffer_store_dword v0, off, s[64:67], 0 offset:72 ; 4-byte Folded Spill
	v_mul_u32_u24_e32 v0, 6, v0
	v_lshlrev_b32_e32 v0, 4, v0
	global_load_dwordx4 v[38:41], v0, s[8:9]
	global_load_dwordx4 v[42:45], v0, s[8:9] offset:16
	global_load_dwordx4 v[56:59], v0, s[8:9] offset:32
	;; [unrolled: 1-line block ×5, first 2 shown]
	s_load_dwordx4 s[4:7], s[6:7], 0x0
	s_mov_b32 s22, 0x37e14327
	s_mov_b32 s20, 0x36b3c0b5
	;; [unrolled: 1-line block ×18, first 2 shown]
	v_mul_u32_u24_e32 v36, 0x77, v36
	v_add_lshl_u32 v204, v36, v37, 4
	s_waitcnt vmcnt(13) lgkmcnt(0)
	v_mul_f64 v[4:5], v[110:111], v[142:143]
	s_waitcnt vmcnt(12)
	v_mul_f64 v[0:1], v[114:115], v[146:147]
	s_waitcnt vmcnt(11)
	;; [unrolled: 2-line block ×5, first 2 shown]
	v_mul_f64 v[16:17], v[70:71], v[154:155]
	v_mul_f64 v[2:3], v[112:113], v[146:147]
	;; [unrolled: 1-line block ×6, first 2 shown]
	s_waitcnt vmcnt(5)
	v_mul_f64 v[24:25], v[102:103], v[40:41]
	s_waitcnt vmcnt(4)
	v_mul_f64 v[28:29], v[106:107], v[44:45]
	v_mul_f64 v[22:23], v[64:65], v[150:151]
	;; [unrolled: 1-line block ×4, first 2 shown]
	v_fma_f64 v[0:1], v[112:113], v[144:145], -v[0:1]
	buffer_store_dword v144, off, s[64:67], 0 offset:128 ; 4-byte Folded Spill
	s_nop 0
	buffer_store_dword v145, off, s[64:67], 0 offset:132 ; 4-byte Folded Spill
	buffer_store_dword v146, off, s[64:67], 0 offset:136 ; 4-byte Folded Spill
	buffer_store_dword v147, off, s[64:67], 0 offset:140 ; 4-byte Folded Spill
	v_fma_f64 v[4:5], v[108:109], v[140:141], -v[4:5]
	buffer_store_dword v140, off, s[64:67], 0 offset:112 ; 4-byte Folded Spill
	s_nop 0
	buffer_store_dword v141, off, s[64:67], 0 offset:116 ; 4-byte Folded Spill
	buffer_store_dword v142, off, s[64:67], 0 offset:120 ; 4-byte Folded Spill
	buffer_store_dword v143, off, s[64:67], 0 offset:124 ; 4-byte Folded Spill
	;; [unrolled: 6-line block ×8, first 2 shown]
	s_waitcnt vmcnt(33)
	v_mul_f64 v[120:121], v[90:91], v[130:131]
	s_waitcnt vmcnt(32)
	v_mul_f64 v[124:125], v[82:83], v[48:49]
	v_mul_f64 v[122:123], v[88:89], v[130:131]
	;; [unrolled: 1-line block ×3, first 2 shown]
	v_add_f64 v[76:77], v[0:1], v[20:21]
	v_add_f64 v[0:1], v[0:1], -v[20:21]
	v_add_f64 v[20:21], v[4:5], v[16:17]
	v_mul_f64 v[116:117], v[94:95], v[54:55]
	v_add_f64 v[4:5], v[4:5], -v[16:17]
	v_fma_f64 v[72:73], v[80:81], v[46:47], -v[124:125]
	v_add_f64 v[16:17], v[8:9], v[12:13]
	v_add_f64 v[8:9], v[12:13], -v[8:9]
	v_mul_f64 v[118:119], v[92:93], v[54:55]
	v_mul_f64 v[32:33], v[98:99], v[58:59]
	v_add_f64 v[12:13], v[20:21], v[76:77]
	v_add_f64 v[80:81], v[20:21], -v[76:77]
	v_mul_f64 v[34:35], v[96:97], v[58:59]
	v_add_f64 v[76:77], v[76:77], -v[16:17]
	v_add_f64 v[20:21], v[16:17], -v[20:21]
	v_fma_f64 v[68:69], v[94:95], v[52:53], v[118:119]
	v_fma_f64 v[32:33], v[96:97], v[56:57], -v[32:33]
	v_add_f64 v[12:13], v[16:17], v[12:13]
	v_fma_f64 v[34:35], v[98:99], v[56:57], v[34:35]
	v_mul_f64 v[16:17], v[76:77], s[22:23]
	v_add_f64 v[76:77], v[60:61], v[12:13]
	v_fma_f64 v[12:13], v[12:13], s[24:25], v[76:77]
	v_fma_f64 v[2:3], v[114:115], v[144:145], v[2:3]
	;; [unrolled: 1-line block ×7, first 2 shown]
	v_fma_f64 v[66:67], v[92:93], v[52:53], -v[116:117]
	v_add_f64 v[92:93], v[8:9], -v[4:5]
	v_fma_f64 v[26:27], v[102:103], v[38:39], v[26:27]
	v_fma_f64 v[64:65], v[106:107], v[42:43], v[30:31]
	v_fma_f64 v[30:31], v[88:89], v[128:129], -v[120:121]
	buffer_store_dword v128, off, s[64:67], 0 offset:240 ; 4-byte Folded Spill
	s_nop 0
	buffer_store_dword v129, off, s[64:67], 0 offset:244 ; 4-byte Folded Spill
	buffer_store_dword v130, off, s[64:67], 0 offset:248 ; 4-byte Folded Spill
	;; [unrolled: 1-line block ×4, first 2 shown]
	s_nop 0
	buffer_store_dword v47, off, s[64:67], 0 offset:228 ; 4-byte Folded Spill
	buffer_store_dword v48, off, s[64:67], 0 offset:232 ; 4-byte Folded Spill
	;; [unrolled: 1-line block ×3, first 2 shown]
	v_add_f64 v[78:79], v[2:3], v[22:23]
	v_add_f64 v[2:3], v[2:3], -v[22:23]
	v_add_f64 v[22:23], v[6:7], v[18:19]
	v_add_f64 v[6:7], v[6:7], -v[18:19]
	v_add_f64 v[18:19], v[10:11], v[14:15]
	v_add_f64 v[10:11], v[14:15], -v[10:11]
	v_add_f64 v[88:89], v[8:9], v[4:5]
	v_add_f64 v[4:5], v[4:5], -v[0:1]
	v_add_f64 v[8:9], v[0:1], -v[8:9]
	v_mul_f64 v[92:93], v[92:93], s[16:17]
	v_add_f64 v[14:15], v[22:23], v[78:79]
	s_waitcnt vmcnt(0)
	s_barrier
	v_add_f64 v[94:95], v[10:11], -v[6:7]
	v_add_f64 v[0:1], v[88:89], v[0:1]
	v_mul_f64 v[88:89], v[20:21], s[20:21]
	v_mul_f64 v[60:61], v[4:5], s[10:11]
	v_fma_f64 v[20:21], v[20:21], s[20:21], v[16:17]
	v_add_f64 v[14:15], v[18:19], v[14:15]
	v_fma_f64 v[16:17], v[80:81], s[26:27], -v[16:17]
	v_fma_f64 v[4:5], v[4:5], s[10:11], -v[92:93]
	v_mul_f64 v[94:95], v[94:95], s[16:17]
	v_fma_f64 v[88:89], v[80:81], s[18:19], -v[88:89]
	v_fma_f64 v[80:81], v[8:9], s[30:31], v[92:93]
	v_fma_f64 v[8:9], v[8:9], s[28:29], -v[60:61]
	v_add_f64 v[100:101], v[20:21], v[12:13]
	v_add_f64 v[96:97], v[16:17], v[12:13]
	v_add_f64 v[20:21], v[66:67], -v[32:33]
	v_add_f64 v[92:93], v[88:89], v[12:13]
	v_fma_f64 v[70:71], v[90:91], v[128:129], v[122:123]
	v_fma_f64 v[74:75], v[82:83], v[46:47], v[126:127]
	v_add_f64 v[82:83], v[22:23], -v[78:79]
	v_add_f64 v[78:79], v[78:79], -v[18:19]
	;; [unrolled: 1-line block ×3, first 2 shown]
	v_add_f64 v[90:91], v[10:11], v[6:7]
	v_add_f64 v[6:7], v[6:7], -v[2:3]
	v_add_f64 v[10:11], v[2:3], -v[10:11]
	v_mul_f64 v[18:19], v[78:79], s[22:23]
	v_add_f64 v[78:79], v[62:63], v[14:15]
	v_add_f64 v[2:3], v[90:91], v[2:3]
	v_mul_f64 v[90:91], v[22:23], s[20:21]
	v_mul_f64 v[62:63], v[6:7], s[10:11]
	v_fma_f64 v[6:7], v[6:7], s[10:11], -v[94:95]
	v_fma_f64 v[22:23], v[22:23], s[20:21], v[18:19]
	v_fma_f64 v[14:15], v[14:15], s[24:25], v[78:79]
	v_fma_f64 v[18:19], v[82:83], s[26:27], -v[18:19]
	v_fma_f64 v[90:91], v[82:83], s[18:19], -v[90:91]
	v_fma_f64 v[82:83], v[10:11], s[30:31], v[94:95]
	v_fma_f64 v[10:11], v[10:11], s[28:29], -v[62:63]
	s_mov_b32 s28, 0x37c3f68c
	s_mov_b32 s29, 0x3fdc38aa
	v_fma_f64 v[106:107], v[0:1], s[28:29], v[80:81]
	v_add_f64 v[102:103], v[22:23], v[14:15]
	v_add_f64 v[98:99], v[18:19], v[14:15]
	;; [unrolled: 1-line block ×3, first 2 shown]
	v_fma_f64 v[108:109], v[0:1], s[28:29], v[4:5]
	v_fma_f64 v[112:113], v[0:1], s[28:29], v[8:9]
	v_add_f64 v[0:1], v[24:25], v[72:73]
	v_add_f64 v[14:15], v[26:27], v[74:75]
	;; [unrolled: 1-line block ×4, first 2 shown]
	v_fma_f64 v[104:105], v[2:3], s[28:29], v[82:83]
	v_fma_f64 v[110:111], v[2:3], s[28:29], v[6:7]
	;; [unrolled: 1-line block ×3, first 2 shown]
	v_add_f64 v[22:23], v[24:25], -v[72:73]
	v_add_f64 v[2:3], v[26:27], -v[74:75]
	v_add_f64 v[6:7], v[32:33], v[66:67]
	v_add_f64 v[10:11], v[34:35], v[68:69]
	;; [unrolled: 1-line block ×4, first 2 shown]
	v_add_f64 v[24:25], v[68:69], -v[34:35]
	v_add_f64 v[30:31], v[28:29], -v[30:31]
	v_add_f64 v[8:9], v[64:65], -v[70:71]
	v_add_f64 v[72:73], v[22:23], -v[20:21]
	v_add_f64 v[26:27], v[0:1], -v[6:7]
	v_add_f64 v[28:29], v[14:15], -v[10:11]
	v_add_f64 v[34:35], v[6:7], -v[4:5]
	v_add_f64 v[64:65], v[10:11], -v[18:19]
	v_add_f64 v[6:7], v[6:7], v[12:13]
	v_add_f64 v[10:11], v[10:11], v[16:17]
	v_add_f64 v[66:67], v[2:3], -v[24:25]
	v_add_f64 v[12:13], v[20:21], v[30:31]
	v_add_f64 v[16:17], v[24:25], v[8:9]
	v_add_f64 v[68:69], v[20:21], -v[30:31]
	v_add_f64 v[32:33], v[24:25], -v[8:9]
	v_mul_f64 v[26:27], v[26:27], s[22:23]
	v_add_f64 v[60:61], v[84:85], v[6:7]
	v_add_f64 v[62:63], v[86:87], v[10:11]
	v_mul_f64 v[70:71], v[28:29], s[22:23]
	v_mul_f64 v[28:29], v[66:67], s[30:31]
	;; [unrolled: 1-line block ×3, first 2 shown]
	v_add_f64 v[74:75], v[12:13], v[22:23]
	v_add_f64 v[66:67], v[16:17], v[2:3]
	;; [unrolled: 1-line block ×3, first 2 shown]
	v_fma_f64 v[20:21], v[6:7], s[24:25], v[60:61]
	v_fma_f64 v[24:25], v[10:11], s[24:25], v[62:63]
	;; [unrolled: 1-line block ×6, first 2 shown]
	v_add_f64 v[82:83], v[102:103], -v[106:107]
	v_add_f64 v[100:101], v[100:101], -v[104:105]
	v_add_f64 v[102:103], v[106:107], v[102:103]
	v_add_f64 v[84:85], v[114:115], v[96:97]
	;; [unrolled: 1-line block ×4, first 2 shown]
	v_fma_f64 v[10:11], v[66:67], s[28:29], v[16:17]
	v_fma_f64 v[16:17], v[74:75], s[28:29], v[116:117]
	v_add_f64 v[86:87], v[98:99], -v[112:113]
	v_add_f64 v[88:89], v[92:93], -v[110:111]
	v_add_f64 v[90:91], v[108:109], v[94:95]
	v_add_f64 v[92:93], v[110:111], v[92:93]
	v_add_f64 v[94:95], v[94:95], -v[108:109]
	v_add_f64 v[96:97], v[96:97], -v[114:115]
	;; [unrolled: 1-line block ×3, first 2 shown]
	v_add_f64 v[106:107], v[16:17], v[12:13]
	v_add_f64 v[98:99], v[112:113], v[98:99]
	ds_write_b128 v204, v[76:79]
	ds_write_b128 v204, v[80:83] offset:272
	ds_write_b128 v204, v[84:87] offset:544
	;; [unrolled: 1-line block ×6, first 2 shown]
	s_mov_b64 s[22:23], exec
	buffer_load_dword v38, off, s[64:67], 0 offset:4 ; 4-byte Folded Reload
	buffer_load_dword v39, off, s[64:67], 0 offset:8 ; 4-byte Folded Reload
	;; [unrolled: 1-line block ×12, first 2 shown]
	s_and_b64 s[24:25], s[22:23], s[2:3]
	s_mov_b64 exec, s[24:25]
	s_cbranch_execz .LBB0_11
; %bb.10:
	v_add_f64 v[22:23], v[30:31], -v[22:23]
	v_add_f64 v[14:15], v[18:19], -v[14:15]
	v_mul_f64 v[18:19], v[34:35], s[20:21]
	v_mul_f64 v[30:31], v[64:65], s[20:21]
	v_add_f64 v[0:1], v[4:5], -v[0:1]
	v_add_f64 v[2:3], v[8:9], -v[2:3]
	v_mul_f64 v[8:9], v[32:33], s[16:17]
	s_mov_b32 s21, 0xbfebfeb5
	s_mov_b32 s20, s10
	v_mul_f64 v[64:65], v[68:69], s[16:17]
	v_fma_f64 v[70:71], v[14:15], s[26:27], -v[70:71]
	v_mul_f64 v[4:5], v[66:67], s[28:29]
	v_fma_f64 v[14:15], v[14:15], s[18:19], -v[30:31]
	v_fma_f64 v[26:27], v[0:1], s[26:27], -v[26:27]
	;; [unrolled: 1-line block ×5, first 2 shown]
	v_mul_f64 v[34:35], v[74:75], s[28:29]
	v_fma_f64 v[68:69], v[22:23], s[20:21], -v[72:73]
	v_fma_f64 v[22:23], v[22:23], s[10:11], -v[64:65]
	v_add_f64 v[32:33], v[70:71], v[24:25]
	v_add_f64 v[14:15], v[14:15], v[24:25]
	;; [unrolled: 1-line block ×8, first 2 shown]
	v_add_f64 v[22:23], v[12:13], -v[16:17]
	v_add_f64 v[30:31], v[34:35], v[68:69]
	v_add_f64 v[16:17], v[26:27], v[24:25]
	v_add_f64 v[12:13], v[0:1], -v[4:5]
	v_add_f64 v[6:7], v[4:5], v[0:1]
	buffer_load_dword v4, off, s[64:67], 0 offset:64 ; 4-byte Folded Reload
	buffer_load_dword v5, off, s[64:67], 0 offset:72 ; 4-byte Folded Reload
	v_add_f64 v[8:9], v[14:15], -v[18:19]
	v_add_f64 v[14:15], v[18:19], v[14:15]
	v_add_f64 v[18:19], v[32:33], -v[30:31]
	v_add_f64 v[2:3], v[30:31], v[32:33]
	v_add_f64 v[0:1], v[24:25], -v[26:27]
	s_waitcnt vmcnt(1)
	v_mul_u32_u24_e32 v4, 0x77, v4
	s_waitcnt vmcnt(0)
	v_add_lshl_u32 v4, v4, v5, 4
	ds_write_b128 v4, v[60:63]
	ds_write_b128 v4, v[20:23] offset:272
	ds_write_b128 v4, v[16:19] offset:544
	;; [unrolled: 1-line block ×6, first 2 shown]
.LBB0_11:
	s_or_b64 exec, exec, s[22:23]
	v_mov_b32_e32 v0, s8
	s_movk_i32 s10, 0xc0
	v_mov_b32_e32 v1, s9
	v_mad_u64_u32 v[0:1], s[8:9], v192, s10, v[0:1]
	s_waitcnt vmcnt(0) lgkmcnt(0)
	s_barrier
	global_load_dwordx4 v[108:111], v[0:1], off offset:1632
	global_load_dwordx4 v[100:103], v[0:1], off offset:1648
	;; [unrolled: 1-line block ×12, first 2 shown]
	ds_read_b128 v[8:11], v255
	ds_read_b128 v[0:3], v255 offset:1904
	ds_read_b128 v[4:7], v255 offset:3808
	ds_read_b128 v[12:15], v255 offset:5712
	ds_read_b128 v[16:19], v255 offset:7616
	ds_read_b128 v[20:23], v255 offset:9520
	ds_read_b128 v[24:27], v255 offset:11424
	ds_read_b128 v[28:31], v255 offset:13328
	ds_read_b128 v[32:35], v255 offset:15232
	ds_read_b128 v[112:115], v255 offset:17136
	ds_read_b128 v[116:119], v255 offset:19040
	ds_read_b128 v[120:123], v255 offset:20944
	ds_read_b128 v[124:127], v255 offset:22848
	s_mov_b32 s30, 0x42a4c3d2
	s_mov_b32 s38, 0x66966769
	s_mov_b32 s20, 0x2ef20147
	s_mov_b32 s26, 0x24c2f84
	s_mov_b32 s34, 0x4bc48dbf
	s_mov_b32 s23, 0xbfddbe06
	s_mov_b32 s22, 0x4267c47c
	s_mov_b32 s31, 0xbfea55e2
	s_mov_b32 s39, 0xbfefc445
	s_mov_b32 s21, 0xbfedeba7
	s_mov_b32 s27, 0xbfe5384d
	s_mov_b32 s35, 0xbfcea1e5
	s_mov_b32 s18, 0xe00740e9
	s_mov_b32 s10, 0x1ea71119
	s_mov_b32 s8, 0xebaa3ed8
	s_mov_b32 s16, 0xb2365da1
	s_mov_b32 s24, 0xd0032e0c
	s_mov_b32 s28, 0x93053d00
	s_mov_b32 s19, 0x3fec55a7
	s_mov_b32 s11, 0x3fe22d96
	s_mov_b32 s9, 0x3fbedb7d
	s_mov_b32 s17, 0xbfd6b1d8
	s_mov_b32 s25, 0xbfe7f3cc
	s_mov_b32 s29, 0xbfef11f4
	s_mov_b32 s41, 0x3fe5384d
	s_mov_b32 s40, s26
	s_mov_b32 s37, 0x3fefc445
	s_mov_b32 s36, s38
	s_mov_b32 s43, 0x3fedeba7
	s_mov_b32 s42, s20
	s_waitcnt vmcnt(11) lgkmcnt(11)
	v_mul_f64 v[128:129], v[2:3], v[110:111]
	v_mul_f64 v[130:131], v[0:1], v[110:111]
	s_waitcnt vmcnt(10) lgkmcnt(10)
	v_mul_f64 v[132:133], v[6:7], v[102:103]
	v_mul_f64 v[134:135], v[4:5], v[102:103]
	;; [unrolled: 3-line block ×4, first 2 shown]
	v_fma_f64 v[128:129], v[0:1], v[108:109], -v[128:129]
	buffer_store_dword v108, off, s[64:67], 0 offset:176 ; 4-byte Folded Spill
	s_nop 0
	buffer_store_dword v109, off, s[64:67], 0 offset:180 ; 4-byte Folded Spill
	buffer_store_dword v110, off, s[64:67], 0 offset:184 ; 4-byte Folded Spill
	;; [unrolled: 1-line block ×3, first 2 shown]
	s_waitcnt vmcnt(7) lgkmcnt(3)
	v_mul_f64 v[160:161], v[114:115], v[94:95]
	v_mul_f64 v[162:163], v[112:113], v[94:95]
	v_fma_f64 v[132:133], v[4:5], v[100:101], -v[132:133]
	v_fma_f64 v[134:135], v[6:7], v[100:101], v[134:135]
	v_fma_f64 v[4:5], v[28:29], v[68:69], -v[152:153]
	v_fma_f64 v[6:7], v[30:31], v[68:69], v[154:155]
	v_mul_f64 v[140:141], v[18:19], v[62:63]
	v_mul_f64 v[142:143], v[16:17], v[62:63]
	v_fma_f64 v[28:29], v[112:113], v[92:93], -v[160:161]
	v_fma_f64 v[30:31], v[114:115], v[92:93], v[162:163]
	v_add_f64 v[112:113], v[8:9], v[128:129]
	v_fma_f64 v[12:13], v[12:13], v[64:65], -v[136:137]
	v_fma_f64 v[14:15], v[14:15], v[64:65], v[138:139]
	v_mul_f64 v[144:145], v[22:23], v[98:99]
	v_mul_f64 v[146:147], v[20:21], v[98:99]
	v_fma_f64 v[16:17], v[16:17], v[60:61], -v[140:141]
	v_fma_f64 v[18:19], v[18:19], v[60:61], v[142:143]
	v_mul_f64 v[148:149], v[26:27], v[78:79]
	v_add_f64 v[112:113], v[112:113], v[132:133]
	v_mul_f64 v[150:151], v[24:25], v[78:79]
	v_mul_f64 v[156:157], v[34:35], v[74:75]
	v_fma_f64 v[20:21], v[20:21], v[96:97], -v[144:145]
	v_fma_f64 v[22:23], v[22:23], v[96:97], v[146:147]
	v_mul_f64 v[158:159], v[32:33], v[74:75]
	s_waitcnt vmcnt(6) lgkmcnt(2)
	v_mul_f64 v[164:165], v[118:119], v[86:87]
	v_fma_f64 v[0:1], v[24:25], v[76:77], -v[148:149]
	v_add_f64 v[112:113], v[112:113], v[12:13]
	v_mul_f64 v[166:167], v[116:117], v[86:87]
	v_fma_f64 v[24:25], v[32:33], v[72:73], -v[156:157]
	s_waitcnt vmcnt(4) lgkmcnt(0)
	v_mul_f64 v[172:173], v[126:127], v[90:91]
	v_mul_f64 v[174:175], v[124:125], v[90:91]
	;; [unrolled: 1-line block ×4, first 2 shown]
	v_fma_f64 v[116:117], v[116:117], v[84:85], -v[164:165]
	v_add_f64 v[112:113], v[112:113], v[16:17]
	v_fma_f64 v[118:119], v[118:119], v[84:85], v[166:167]
	v_fma_f64 v[32:33], v[124:125], v[88:89], -v[172:173]
	v_fma_f64 v[120:121], v[120:121], v[80:81], -v[168:169]
	v_fma_f64 v[122:123], v[122:123], v[80:81], v[170:171]
	v_add_f64 v[112:113], v[112:113], v[20:21]
	v_add_f64 v[124:125], v[128:129], v[32:33]
	v_add_f64 v[128:129], v[128:129], -v[32:33]
	v_add_f64 v[136:137], v[132:133], v[120:121]
	v_add_f64 v[138:139], v[134:135], v[122:123]
	v_add_f64 v[132:133], v[132:133], -v[120:121]
	v_add_f64 v[112:113], v[112:113], v[0:1]
	v_mul_f64 v[142:143], v[128:129], s[22:23]
	v_mul_f64 v[146:147], v[128:129], s[30:31]
	;; [unrolled: 1-line block ×4, first 2 shown]
	v_add_f64 v[112:113], v[112:113], v[4:5]
	v_add_f64 v[112:113], v[112:113], v[24:25]
	;; [unrolled: 1-line block ×3, first 2 shown]
	v_fma_f64 v[130:131], v[2:3], v[108:109], v[130:131]
	v_fma_f64 v[2:3], v[26:27], v[76:77], v[150:151]
	v_fma_f64 v[26:27], v[34:35], v[72:73], v[158:159]
	v_fma_f64 v[34:35], v[126:127], v[88:89], v[174:175]
	v_mul_f64 v[150:151], v[128:129], s[38:39]
	v_mul_f64 v[158:159], v[128:129], s[26:27]
	v_add_f64 v[112:113], v[112:113], v[116:117]
	v_mul_f64 v[128:129], v[128:129], s[34:35]
	v_add_f64 v[114:115], v[10:11], v[130:131]
	v_add_f64 v[126:127], v[130:131], v[34:35]
	v_add_f64 v[130:131], v[130:131], -v[34:35]
	v_add_f64 v[112:113], v[112:113], v[120:121]
	v_add_f64 v[114:115], v[114:115], v[134:135]
	v_add_f64 v[134:135], v[134:135], -v[122:123]
	v_fma_f64 v[166:167], v[126:127], s[18:19], v[142:143]
	v_mul_f64 v[140:141], v[130:131], s[22:23]
	v_mul_f64 v[144:145], v[130:131], s[30:31]
	;; [unrolled: 1-line block ×4, first 2 shown]
	v_add_f64 v[114:115], v[114:115], v[14:15]
	v_mul_f64 v[156:157], v[130:131], s[26:27]
	v_mul_f64 v[130:131], v[130:131], s[34:35]
	v_fma_f64 v[142:143], v[126:127], s[18:19], -v[142:143]
	v_fma_f64 v[164:165], v[124:125], s[18:19], -v[140:141]
	v_fma_f64 v[140:141], v[124:125], s[18:19], v[140:141]
	v_fma_f64 v[168:169], v[124:125], s[10:11], -v[144:145]
	v_fma_f64 v[170:171], v[126:127], s[10:11], v[146:147]
	v_add_f64 v[114:115], v[114:115], v[18:19]
	v_fma_f64 v[144:145], v[124:125], s[10:11], v[144:145]
	v_fma_f64 v[146:147], v[126:127], s[10:11], -v[146:147]
	v_fma_f64 v[172:173], v[124:125], s[8:9], -v[148:149]
	v_fma_f64 v[174:175], v[126:127], s[8:9], v[150:151]
	v_fma_f64 v[148:149], v[124:125], s[8:9], v[148:149]
	v_fma_f64 v[150:151], v[126:127], s[8:9], -v[150:151]
	v_fma_f64 v[176:177], v[124:125], s[16:17], -v[152:153]
	v_add_f64 v[114:115], v[114:115], v[22:23]
	v_fma_f64 v[178:179], v[126:127], s[16:17], v[154:155]
	v_fma_f64 v[152:153], v[124:125], s[16:17], v[152:153]
	v_fma_f64 v[154:155], v[126:127], s[16:17], -v[154:155]
	v_fma_f64 v[180:181], v[124:125], s[24:25], -v[156:157]
	v_fma_f64 v[182:183], v[126:127], s[24:25], v[158:159]
	v_fma_f64 v[156:157], v[124:125], s[24:25], v[156:157]
	v_fma_f64 v[158:159], v[126:127], s[24:25], -v[158:159]
	v_add_f64 v[114:115], v[114:115], v[2:3]
	v_fma_f64 v[184:185], v[124:125], s[28:29], -v[130:131]
	v_fma_f64 v[186:187], v[126:127], s[28:29], v[128:129]
	v_add_f64 v[112:113], v[112:113], v[32:33]
	v_fma_f64 v[32:33], v[124:125], s[28:29], v[130:131]
	v_mul_f64 v[160:161], v[134:135], s[30:31]
	v_add_f64 v[164:165], v[8:9], v[164:165]
	v_add_f64 v[166:167], v[10:11], v[166:167]
	;; [unrolled: 1-line block ×22, first 2 shown]
	v_mul_f64 v[32:33], v[134:135], s[20:21]
	v_fma_f64 v[130:131], v[138:139], s[10:11], v[162:163]
	v_fma_f64 v[162:163], v[138:139], s[10:11], -v[162:163]
	s_mov_b32 s23, 0x3fddbe06
	v_add_f64 v[114:115], v[114:115], v[118:119]
	v_fma_f64 v[180:181], v[136:137], s[16:17], -v[32:33]
	v_add_f64 v[130:131], v[130:131], v[166:167]
	v_mul_f64 v[166:167], v[132:133], s[34:35]
	v_add_f64 v[142:143], v[162:163], v[142:143]
	v_add_f64 v[114:115], v[114:115], v[122:123]
	;; [unrolled: 1-line block ×4, first 2 shown]
	v_fma_f64 v[32:33], v[136:137], s[16:17], v[32:33]
	v_add_f64 v[114:115], v[114:115], v[34:35]
	v_fma_f64 v[34:35], v[126:127], s[28:29], -v[128:129]
	v_add_f64 v[126:127], v[10:11], v[158:159]
	v_add_f64 v[158:159], v[10:11], v[186:187]
	v_fma_f64 v[128:129], v[136:137], s[10:11], -v[160:161]
	v_fma_f64 v[160:161], v[136:137], s[10:11], v[160:161]
	v_fma_f64 v[186:187], v[138:139], s[28:29], v[166:167]
	v_add_f64 v[32:33], v[32:33], v[144:145]
	v_fma_f64 v[166:167], v[138:139], s[28:29], -v[166:167]
	v_add_f64 v[10:11], v[10:11], v[34:35]
	v_mul_f64 v[34:35], v[132:133], s[20:21]
	v_add_f64 v[128:129], v[128:129], v[164:165]
	v_mul_f64 v[164:165], v[134:135], s[34:35]
	v_add_f64 v[140:141], v[160:161], v[140:141]
	v_add_f64 v[160:161], v[180:181], v[168:169]
	v_mul_f64 v[168:169], v[134:135], s[40:41]
	v_add_f64 v[150:151], v[166:167], v[150:151]
	v_fma_f64 v[182:183], v[138:139], s[16:17], v[34:35]
	v_fma_f64 v[34:35], v[138:139], s[16:17], -v[34:35]
	v_fma_f64 v[184:185], v[136:137], s[28:29], -v[164:165]
	v_fma_f64 v[164:165], v[136:137], s[28:29], v[164:165]
	v_fma_f64 v[180:181], v[136:137], s[24:25], -v[168:169]
	v_fma_f64 v[168:169], v[136:137], s[24:25], v[168:169]
	v_add_f64 v[162:163], v[182:183], v[170:171]
	v_mul_f64 v[170:171], v[132:133], s[40:41]
	v_add_f64 v[34:35], v[34:35], v[146:147]
	v_add_f64 v[144:145], v[184:185], v[172:173]
	;; [unrolled: 1-line block ×3, first 2 shown]
	v_mul_f64 v[172:173], v[134:135], s[36:37]
	v_mul_f64 v[174:175], v[132:133], s[36:37]
	v_add_f64 v[152:153], v[168:169], v[152:153]
	v_add_f64 v[168:169], v[14:15], -v[118:119]
	v_fma_f64 v[182:183], v[138:139], s[24:25], v[170:171]
	v_fma_f64 v[170:171], v[138:139], s[24:25], -v[170:171]
	v_add_f64 v[148:149], v[164:165], v[148:149]
	v_mul_f64 v[134:135], v[134:135], s[22:23]
	v_fma_f64 v[184:185], v[136:137], s[8:9], -v[172:173]
	v_fma_f64 v[164:165], v[138:139], s[8:9], v[174:175]
	v_mul_f64 v[132:133], v[132:133], s[22:23]
	v_add_f64 v[14:15], v[14:15], v[118:119]
	v_fma_f64 v[172:173], v[136:137], s[8:9], v[172:173]
	v_add_f64 v[154:155], v[170:171], v[154:155]
	v_add_f64 v[170:171], v[12:13], -v[116:117]
	v_add_f64 v[12:13], v[12:13], v[116:117]
	v_mul_f64 v[116:117], v[168:169], s[38:39]
	v_add_f64 v[166:167], v[184:185], v[176:177]
	v_add_f64 v[164:165], v[164:165], v[178:179]
	v_fma_f64 v[174:175], v[138:139], s[8:9], -v[174:175]
	v_fma_f64 v[176:177], v[136:137], s[18:19], -v[134:135]
	v_fma_f64 v[178:179], v[138:139], s[18:19], v[132:133]
	v_mul_f64 v[118:119], v[170:171], s[38:39]
	v_fma_f64 v[134:135], v[136:137], s[18:19], v[134:135]
	v_fma_f64 v[132:133], v[138:139], s[18:19], -v[132:133]
	v_fma_f64 v[136:137], v[12:13], s[8:9], -v[116:117]
	v_fma_f64 v[116:117], v[12:13], s[8:9], v[116:117]
	v_add_f64 v[124:125], v[172:173], v[124:125]
	v_add_f64 v[126:127], v[174:175], v[126:127]
	;; [unrolled: 1-line block ×3, first 2 shown]
	v_fma_f64 v[138:139], v[14:15], s[8:9], v[118:119]
	v_fma_f64 v[118:119], v[14:15], s[8:9], -v[118:119]
	v_add_f64 v[8:9], v[134:135], v[8:9]
	v_add_f64 v[128:129], v[136:137], v[128:129]
	v_mul_f64 v[136:137], v[168:169], s[42:43]
	v_add_f64 v[10:11], v[132:133], v[10:11]
	v_mul_f64 v[132:133], v[168:169], s[34:35]
	v_mul_f64 v[134:135], v[170:171], s[34:35]
	v_add_f64 v[130:131], v[138:139], v[130:131]
	v_mul_f64 v[138:139], v[170:171], s[42:43]
	v_add_f64 v[116:117], v[116:117], v[140:141]
	v_add_f64 v[118:119], v[118:119], v[142:143]
	v_fma_f64 v[140:141], v[12:13], s[16:17], -v[136:137]
	v_fma_f64 v[136:137], v[12:13], s[16:17], v[136:137]
	v_fma_f64 v[172:173], v[12:13], s[28:29], -v[132:133]
	v_fma_f64 v[174:175], v[14:15], s[28:29], v[134:135]
	v_fma_f64 v[132:133], v[12:13], s[28:29], v[132:133]
	;; [unrolled: 1-line block ×3, first 2 shown]
	v_fma_f64 v[134:135], v[14:15], s[28:29], -v[134:135]
	v_fma_f64 v[138:139], v[14:15], s[16:17], -v[138:139]
	v_add_f64 v[140:141], v[140:141], v[144:145]
	v_mul_f64 v[144:145], v[168:169], s[30:31]
	v_add_f64 v[136:137], v[136:137], v[148:149]
	v_add_f64 v[160:161], v[172:173], v[160:161]
	;; [unrolled: 1-line block ×4, first 2 shown]
	v_mul_f64 v[146:147], v[170:171], s[30:31]
	v_add_f64 v[34:35], v[134:135], v[34:35]
	v_mul_f64 v[132:133], v[168:169], s[22:23]
	v_mul_f64 v[134:135], v[170:171], s[22:23]
	v_add_f64 v[138:139], v[138:139], v[150:151]
	v_fma_f64 v[148:149], v[12:13], s[10:11], -v[144:145]
	v_add_f64 v[162:163], v[174:175], v[162:163]
	v_fma_f64 v[144:145], v[12:13], s[10:11], v[144:145]
	v_fma_f64 v[150:151], v[14:15], s[10:11], v[146:147]
	v_fma_f64 v[146:147], v[14:15], s[10:11], -v[146:147]
	v_fma_f64 v[172:173], v[12:13], s[18:19], -v[132:133]
	v_fma_f64 v[174:175], v[14:15], s[18:19], v[134:135]
	v_fma_f64 v[132:133], v[12:13], s[18:19], v[132:133]
	v_fma_f64 v[134:135], v[14:15], s[18:19], -v[134:135]
	v_add_f64 v[148:149], v[148:149], v[166:167]
	v_add_f64 v[166:167], v[16:17], -v[28:29]
	v_add_f64 v[150:151], v[150:151], v[164:165]
	v_add_f64 v[164:165], v[18:19], -v[30:31]
	v_add_f64 v[16:17], v[16:17], v[28:29]
	v_add_f64 v[18:19], v[18:19], v[30:31]
	v_add_f64 v[132:133], v[132:133], v[152:153]
	v_add_f64 v[134:135], v[134:135], v[154:155]
	v_mul_f64 v[152:153], v[168:169], s[26:27]
	v_mul_f64 v[154:155], v[170:171], s[26:27]
	;; [unrolled: 1-line block ×4, first 2 shown]
	v_add_f64 v[158:159], v[178:179], v[158:159]
	v_add_f64 v[124:125], v[144:145], v[124:125]
	;; [unrolled: 1-line block ×4, first 2 shown]
	v_fma_f64 v[168:169], v[12:13], s[24:25], -v[152:153]
	v_fma_f64 v[170:171], v[14:15], s[24:25], v[154:155]
	v_fma_f64 v[12:13], v[12:13], s[24:25], v[152:153]
	v_fma_f64 v[14:15], v[14:15], s[24:25], -v[154:155]
	v_fma_f64 v[152:153], v[16:17], s[16:17], -v[28:29]
	v_fma_f64 v[154:155], v[18:19], s[16:17], v[30:31]
	v_fma_f64 v[28:29], v[16:17], s[16:17], v[28:29]
	v_fma_f64 v[30:31], v[18:19], s[16:17], -v[30:31]
	v_add_f64 v[144:145], v[168:169], v[156:157]
	v_add_f64 v[146:147], v[170:171], v[158:159]
	;; [unrolled: 1-line block ×4, first 2 shown]
	v_mul_f64 v[12:13], v[164:165], s[40:41]
	v_mul_f64 v[14:15], v[166:167], s[40:41]
	v_add_f64 v[128:129], v[152:153], v[128:129]
	v_add_f64 v[130:131], v[154:155], v[130:131]
	v_mul_f64 v[152:153], v[164:165], s[22:23]
	v_mul_f64 v[154:155], v[166:167], s[22:23]
	v_add_f64 v[28:29], v[28:29], v[116:117]
	v_add_f64 v[30:31], v[30:31], v[118:119]
	v_fma_f64 v[156:157], v[16:17], s[24:25], -v[12:13]
	v_fma_f64 v[158:159], v[18:19], s[24:25], v[14:15]
	v_fma_f64 v[12:13], v[16:17], s[24:25], v[12:13]
	v_fma_f64 v[14:15], v[18:19], s[24:25], -v[14:15]
	v_fma_f64 v[116:117], v[16:17], s[18:19], -v[152:153]
	v_fma_f64 v[118:119], v[18:19], s[18:19], v[154:155]
	s_mov_b32 s41, 0x3fcea1e5
	s_mov_b32 s40, s34
	v_add_f64 v[122:123], v[182:183], v[122:123]
	v_add_f64 v[156:157], v[156:157], v[160:161]
	;; [unrolled: 1-line block ×3, first 2 shown]
	v_mul_f64 v[160:161], v[164:165], s[38:39]
	v_mul_f64 v[162:163], v[166:167], s[38:39]
	v_add_f64 v[12:13], v[12:13], v[32:33]
	v_add_f64 v[14:15], v[14:15], v[34:35]
	;; [unrolled: 1-line block ×4, first 2 shown]
	v_fma_f64 v[116:117], v[16:17], s[18:19], v[152:153]
	v_fma_f64 v[118:119], v[18:19], s[18:19], -v[154:155]
	v_mul_f64 v[152:153], v[164:165], s[40:41]
	v_mul_f64 v[154:155], v[166:167], s[40:41]
	v_add_f64 v[120:121], v[172:173], v[120:121]
	v_add_f64 v[122:123], v[174:175], v[122:123]
	v_fma_f64 v[140:141], v[16:17], s[8:9], -v[160:161]
	v_fma_f64 v[142:143], v[18:19], s[8:9], v[162:163]
	v_add_f64 v[116:117], v[116:117], v[136:137]
	v_add_f64 v[118:119], v[118:119], v[138:139]
	v_fma_f64 v[136:137], v[16:17], s[28:29], -v[152:153]
	v_fma_f64 v[138:139], v[18:19], s[28:29], v[154:155]
	s_mov_b32 s39, 0x3fea55e2
	s_mov_b32 s38, s30
	v_fma_f64 v[160:161], v[16:17], s[8:9], v[160:161]
	v_fma_f64 v[162:163], v[18:19], s[8:9], -v[162:163]
	v_add_f64 v[120:121], v[140:141], v[120:121]
	v_add_f64 v[122:123], v[142:143], v[122:123]
	v_mul_f64 v[140:141], v[164:165], s[38:39]
	v_mul_f64 v[142:143], v[166:167], s[38:39]
	v_add_f64 v[136:137], v[136:137], v[148:149]
	v_add_f64 v[138:139], v[138:139], v[150:151]
	v_add_f64 v[148:149], v[22:23], -v[26:27]
	v_add_f64 v[150:151], v[20:21], -v[24:25]
	v_add_f64 v[132:133], v[160:161], v[132:133]
	v_add_f64 v[134:135], v[162:163], v[134:135]
	v_fma_f64 v[152:153], v[16:17], s[28:29], v[152:153]
	v_fma_f64 v[154:155], v[18:19], s[28:29], -v[154:155]
	v_fma_f64 v[160:161], v[16:17], s[10:11], -v[140:141]
	v_fma_f64 v[162:163], v[18:19], s[10:11], v[142:143]
	v_add_f64 v[20:21], v[20:21], v[24:25]
	v_add_f64 v[22:23], v[22:23], v[26:27]
	v_mul_f64 v[24:25], v[148:149], s[26:27]
	v_mul_f64 v[26:27], v[150:151], s[26:27]
	v_fma_f64 v[16:17], v[16:17], s[10:11], v[140:141]
	v_fma_f64 v[18:19], v[18:19], s[10:11], -v[142:143]
	v_add_f64 v[140:141], v[160:161], v[144:145]
	v_add_f64 v[142:143], v[162:163], v[146:147]
	;; [unrolled: 1-line block ×4, first 2 shown]
	v_fma_f64 v[144:145], v[20:21], s[24:25], -v[24:25]
	v_fma_f64 v[146:147], v[22:23], s[24:25], v[26:27]
	v_add_f64 v[8:9], v[16:17], v[8:9]
	v_add_f64 v[10:11], v[18:19], v[10:11]
	v_mul_f64 v[16:17], v[148:149], s[36:37]
	v_mul_f64 v[18:19], v[150:151], s[36:37]
	v_fma_f64 v[24:25], v[20:21], s[24:25], v[24:25]
	v_fma_f64 v[26:27], v[22:23], s[24:25], -v[26:27]
	v_add_f64 v[128:129], v[144:145], v[128:129]
	v_add_f64 v[130:131], v[146:147], v[130:131]
	v_mul_f64 v[144:145], v[148:149], s[30:31]
	v_mul_f64 v[146:147], v[150:151], s[30:31]
	v_fma_f64 v[152:153], v[20:21], s[8:9], -v[16:17]
	v_fma_f64 v[154:155], v[22:23], s[8:9], v[18:19]
	v_add_f64 v[24:25], v[24:25], v[28:29]
	v_add_f64 v[26:27], v[26:27], v[30:31]
	v_fma_f64 v[16:17], v[20:21], s[8:9], v[16:17]
	v_fma_f64 v[18:19], v[22:23], s[8:9], -v[18:19]
	v_fma_f64 v[28:29], v[20:21], s[10:11], -v[144:145]
	v_fma_f64 v[30:31], v[22:23], s[10:11], v[146:147]
	v_add_f64 v[152:153], v[152:153], v[156:157]
	v_add_f64 v[154:155], v[154:155], v[158:159]
	v_mul_f64 v[156:157], v[148:149], s[40:41]
	v_mul_f64 v[158:159], v[150:151], s[40:41]
	v_add_f64 v[12:13], v[16:17], v[12:13]
	v_add_f64 v[14:15], v[18:19], v[14:15]
	;; [unrolled: 1-line block ×4, first 2 shown]
	v_fma_f64 v[28:29], v[20:21], s[10:11], v[144:145]
	v_fma_f64 v[30:31], v[22:23], s[10:11], -v[146:147]
	v_fma_f64 v[32:33], v[20:21], s[28:29], -v[156:157]
	v_fma_f64 v[34:35], v[22:23], s[28:29], v[158:159]
	v_mul_f64 v[144:145], v[148:149], s[22:23]
	v_mul_f64 v[146:147], v[150:151], s[22:23]
	v_fma_f64 v[156:157], v[20:21], s[28:29], v[156:157]
	v_fma_f64 v[158:159], v[22:23], s[28:29], -v[158:159]
	v_add_f64 v[28:29], v[28:29], v[116:117]
	v_add_f64 v[30:31], v[30:31], v[118:119]
	;; [unrolled: 1-line block ×4, first 2 shown]
	v_fma_f64 v[116:117], v[20:21], s[18:19], -v[144:145]
	v_fma_f64 v[118:119], v[22:23], s[18:19], v[146:147]
	v_add_f64 v[156:157], v[156:157], v[132:133]
	v_add_f64 v[158:159], v[158:159], v[134:135]
	v_fma_f64 v[120:121], v[20:21], s[18:19], v[144:145]
	v_fma_f64 v[122:123], v[22:23], s[18:19], -v[146:147]
	v_mul_f64 v[132:133], v[148:149], s[20:21]
	v_mul_f64 v[134:135], v[150:151], s[20:21]
	v_add_f64 v[144:145], v[2:3], -v[6:7]
	v_add_f64 v[146:147], v[0:1], -v[4:5]
	v_add_f64 v[148:149], v[116:117], v[136:137]
	v_add_f64 v[150:151], v[118:119], v[138:139]
	;; [unrolled: 1-line block ×4, first 2 shown]
	v_fma_f64 v[116:117], v[20:21], s[16:17], -v[132:133]
	v_fma_f64 v[118:119], v[22:23], s[16:17], v[134:135]
	v_mul_f64 v[4:5], v[144:145], s[34:35]
	v_mul_f64 v[6:7], v[146:147], s[34:35]
	v_fma_f64 v[20:21], v[20:21], s[16:17], v[132:133]
	v_fma_f64 v[22:23], v[22:23], s[16:17], -v[134:135]
	v_mul_f64 v[132:133], v[144:145], s[22:23]
	v_mul_f64 v[134:135], v[146:147], s[22:23]
	v_add_f64 v[164:165], v[116:117], v[140:141]
	v_add_f64 v[166:167], v[118:119], v[142:143]
	v_fma_f64 v[116:117], v[0:1], s[28:29], -v[4:5]
	v_fma_f64 v[118:119], v[2:3], s[28:29], v[6:7]
	v_fma_f64 v[4:5], v[0:1], s[28:29], v[4:5]
	v_fma_f64 v[6:7], v[2:3], s[28:29], -v[6:7]
	v_add_f64 v[160:161], v[120:121], v[124:125]
	v_add_f64 v[162:163], v[122:123], v[126:127]
	;; [unrolled: 1-line block ×4, first 2 shown]
	v_fma_f64 v[20:21], v[0:1], s[18:19], -v[132:133]
	v_fma_f64 v[22:23], v[2:3], s[18:19], v[134:135]
	v_add_f64 v[116:117], v[116:117], v[128:129]
	v_add_f64 v[118:119], v[118:119], v[130:131]
	v_mul_f64 v[128:129], v[144:145], s[26:27]
	v_mul_f64 v[130:131], v[146:147], s[26:27]
	v_add_f64 v[124:125], v[4:5], v[24:25]
	v_add_f64 v[126:127], v[6:7], v[26:27]
	v_fma_f64 v[4:5], v[0:1], s[18:19], v[132:133]
	v_fma_f64 v[6:7], v[2:3], s[18:19], -v[134:135]
	v_mul_f64 v[24:25], v[144:145], s[38:39]
	v_mul_f64 v[26:27], v[146:147], s[38:39]
	v_add_f64 v[120:121], v[20:21], v[152:153]
	v_add_f64 v[122:123], v[22:23], v[154:155]
	v_fma_f64 v[20:21], v[0:1], s[24:25], -v[128:129]
	v_fma_f64 v[22:23], v[2:3], s[24:25], v[130:131]
	v_add_f64 v[132:133], v[4:5], v[12:13]
	v_add_f64 v[134:135], v[6:7], v[14:15]
	v_fma_f64 v[4:5], v[0:1], s[10:11], -v[24:25]
	v_fma_f64 v[6:7], v[2:3], s[10:11], v[26:27]
	v_fma_f64 v[136:137], v[0:1], s[24:25], v[128:129]
	v_fma_f64 v[138:139], v[2:3], s[24:25], -v[130:131]
	v_add_f64 v[128:129], v[20:21], v[16:17]
	v_add_f64 v[130:131], v[22:23], v[18:19]
	v_fma_f64 v[12:13], v[0:1], s[10:11], v[24:25]
	v_fma_f64 v[14:15], v[2:3], s[10:11], -v[26:27]
	v_mul_f64 v[16:17], v[144:145], s[20:21]
	v_mul_f64 v[18:19], v[146:147], s[20:21]
	v_add_f64 v[140:141], v[4:5], v[32:33]
	v_add_f64 v[142:143], v[6:7], v[34:35]
	v_mul_f64 v[4:5], v[144:145], s[36:37]
	v_mul_f64 v[6:7], v[146:147], s[36:37]
	v_add_f64 v[144:145], v[12:13], v[156:157]
	v_add_f64 v[146:147], v[14:15], v[158:159]
	v_fma_f64 v[12:13], v[0:1], s[16:17], -v[16:17]
	v_fma_f64 v[14:15], v[2:3], s[16:17], v[18:19]
	v_fma_f64 v[16:17], v[0:1], s[16:17], v[16:17]
	v_fma_f64 v[18:19], v[2:3], s[16:17], -v[18:19]
	v_fma_f64 v[20:21], v[0:1], s[8:9], -v[4:5]
	v_fma_f64 v[22:23], v[2:3], s[8:9], v[6:7]
	v_fma_f64 v[0:1], v[0:1], s[8:9], v[4:5]
	v_fma_f64 v[2:3], v[2:3], s[8:9], -v[6:7]
	v_add_f64 v[136:137], v[136:137], v[28:29]
	v_add_f64 v[138:139], v[138:139], v[30:31]
	;; [unrolled: 1-line block ×10, first 2 shown]
	ds_write_b128 v255, v[112:115]
	ds_write_b128 v255, v[116:119] offset:1904
	ds_write_b128 v255, v[120:123] offset:3808
	;; [unrolled: 1-line block ×12, first 2 shown]
	s_waitcnt vmcnt(0) lgkmcnt(0)
	s_barrier
	s_and_saveexec_b64 s[8:9], s[0:1]
	s_cbranch_execz .LBB0_13
; %bb.12:
	v_add_co_u32_e32 v0, vcc, s12, v255
	v_mov_b32_e32 v1, s13
	v_addc_co_u32_e32 v1, vcc, 0, v1, vcc
	v_add_co_u32_e32 v14, vcc, 0x60b0, v0
	v_addc_co_u32_e32 v15, vcc, 0, v1, vcc
	v_add_co_u32_e32 v6, vcc, 0x6000, v0
	v_addc_co_u32_e32 v7, vcc, 0, v1, vcc
	global_load_dwordx4 v[6:9], v[6:7], off offset:176
	ds_read_b128 v[2:5], v255
	s_movk_i32 s10, 0x7000
	s_waitcnt vmcnt(0) lgkmcnt(0)
	v_mul_f64 v[10:11], v[4:5], v[8:9]
	v_fma_f64 v[10:11], v[2:3], v[6:7], -v[10:11]
	v_mul_f64 v[2:3], v[2:3], v[8:9]
	v_fma_f64 v[12:13], v[4:5], v[6:7], v[2:3]
	global_load_dwordx4 v[6:9], v[14:15], off offset:1456
	ds_read_b128 v[2:5], v255 offset:1456
	ds_write_b128 v255, v[10:13]
	s_waitcnt vmcnt(0) lgkmcnt(1)
	v_mul_f64 v[10:11], v[4:5], v[8:9]
	v_fma_f64 v[10:11], v[2:3], v[6:7], -v[10:11]
	v_mul_f64 v[2:3], v[2:3], v[8:9]
	v_fma_f64 v[12:13], v[4:5], v[6:7], v[2:3]
	global_load_dwordx4 v[6:9], v[14:15], off offset:2912
	ds_read_b128 v[2:5], v255 offset:2912
	v_add_co_u32_e32 v14, vcc, s10, v0
	v_addc_co_u32_e32 v15, vcc, 0, v1, vcc
	s_mov_b32 s10, 0x8000
	ds_write_b128 v255, v[10:13] offset:1456
	s_waitcnt vmcnt(0) lgkmcnt(1)
	v_mul_f64 v[10:11], v[4:5], v[8:9]
	v_fma_f64 v[10:11], v[2:3], v[6:7], -v[10:11]
	v_mul_f64 v[2:3], v[2:3], v[8:9]
	v_fma_f64 v[12:13], v[4:5], v[6:7], v[2:3]
	global_load_dwordx4 v[6:9], v[14:15], off offset:448
	ds_read_b128 v[2:5], v255 offset:4368
	ds_write_b128 v255, v[10:13] offset:2912
	s_waitcnt vmcnt(0) lgkmcnt(1)
	v_mul_f64 v[10:11], v[4:5], v[8:9]
	v_fma_f64 v[10:11], v[2:3], v[6:7], -v[10:11]
	v_mul_f64 v[2:3], v[2:3], v[8:9]
	v_fma_f64 v[12:13], v[4:5], v[6:7], v[2:3]
	global_load_dwordx4 v[6:9], v[14:15], off offset:1904
	ds_read_b128 v[2:5], v255 offset:5824
	ds_write_b128 v255, v[10:13] offset:4368
	s_waitcnt vmcnt(0) lgkmcnt(1)
	v_mul_f64 v[10:11], v[4:5], v[8:9]
	v_fma_f64 v[10:11], v[2:3], v[6:7], -v[10:11]
	v_mul_f64 v[2:3], v[2:3], v[8:9]
	v_fma_f64 v[12:13], v[4:5], v[6:7], v[2:3]
	global_load_dwordx4 v[6:9], v[14:15], off offset:3360
	ds_read_b128 v[2:5], v255 offset:7280
	v_add_co_u32_e32 v14, vcc, s10, v0
	v_addc_co_u32_e32 v15, vcc, 0, v1, vcc
	s_mov_b32 s10, 0x9000
	ds_write_b128 v255, v[10:13] offset:5824
	s_waitcnt vmcnt(0) lgkmcnt(1)
	v_mul_f64 v[10:11], v[4:5], v[8:9]
	v_fma_f64 v[10:11], v[2:3], v[6:7], -v[10:11]
	v_mul_f64 v[2:3], v[2:3], v[8:9]
	v_fma_f64 v[12:13], v[4:5], v[6:7], v[2:3]
	global_load_dwordx4 v[6:9], v[14:15], off offset:720
	ds_read_b128 v[2:5], v255 offset:8736
	ds_write_b128 v255, v[10:13] offset:7280
	s_waitcnt vmcnt(0) lgkmcnt(1)
	v_mul_f64 v[10:11], v[4:5], v[8:9]
	v_fma_f64 v[10:11], v[2:3], v[6:7], -v[10:11]
	v_mul_f64 v[2:3], v[2:3], v[8:9]
	v_fma_f64 v[12:13], v[4:5], v[6:7], v[2:3]
	global_load_dwordx4 v[6:9], v[14:15], off offset:2176
	ds_read_b128 v[2:5], v255 offset:10192
	ds_write_b128 v255, v[10:13] offset:8736
	s_waitcnt vmcnt(0) lgkmcnt(1)
	v_mul_f64 v[10:11], v[4:5], v[8:9]
	v_fma_f64 v[10:11], v[2:3], v[6:7], -v[10:11]
	v_mul_f64 v[2:3], v[2:3], v[8:9]
	v_fma_f64 v[12:13], v[4:5], v[6:7], v[2:3]
	global_load_dwordx4 v[6:9], v[14:15], off offset:3632
	ds_read_b128 v[2:5], v255 offset:11648
	v_add_co_u32_e32 v14, vcc, s10, v0
	v_addc_co_u32_e32 v15, vcc, 0, v1, vcc
	s_mov_b32 s10, 0xa000
	ds_write_b128 v255, v[10:13] offset:10192
	s_waitcnt vmcnt(0) lgkmcnt(1)
	v_mul_f64 v[10:11], v[4:5], v[8:9]
	v_fma_f64 v[10:11], v[2:3], v[6:7], -v[10:11]
	v_mul_f64 v[2:3], v[2:3], v[8:9]
	v_fma_f64 v[12:13], v[4:5], v[6:7], v[2:3]
	global_load_dwordx4 v[6:9], v[14:15], off offset:992
	ds_read_b128 v[2:5], v255 offset:13104
	ds_write_b128 v255, v[10:13] offset:11648
	s_waitcnt vmcnt(0) lgkmcnt(1)
	v_mul_f64 v[10:11], v[4:5], v[8:9]
	v_fma_f64 v[10:11], v[2:3], v[6:7], -v[10:11]
	v_mul_f64 v[2:3], v[2:3], v[8:9]
	v_fma_f64 v[12:13], v[4:5], v[6:7], v[2:3]
	global_load_dwordx4 v[6:9], v[14:15], off offset:2448
	ds_read_b128 v[2:5], v255 offset:14560
	ds_write_b128 v255, v[10:13] offset:13104
	s_waitcnt vmcnt(0) lgkmcnt(1)
	v_mul_f64 v[10:11], v[4:5], v[8:9]
	v_fma_f64 v[10:11], v[2:3], v[6:7], -v[10:11]
	v_mul_f64 v[2:3], v[2:3], v[8:9]
	v_fma_f64 v[12:13], v[4:5], v[6:7], v[2:3]
	global_load_dwordx4 v[6:9], v[14:15], off offset:3904
	ds_read_b128 v[2:5], v255 offset:16016
	v_add_co_u32_e32 v14, vcc, s10, v0
	v_addc_co_u32_e32 v15, vcc, 0, v1, vcc
	s_mov_b32 s10, 0xb000
	ds_write_b128 v255, v[10:13] offset:14560
	s_waitcnt vmcnt(0) lgkmcnt(1)
	v_mul_f64 v[10:11], v[4:5], v[8:9]
	v_fma_f64 v[10:11], v[2:3], v[6:7], -v[10:11]
	v_mul_f64 v[2:3], v[2:3], v[8:9]
	v_fma_f64 v[12:13], v[4:5], v[6:7], v[2:3]
	global_load_dwordx4 v[6:9], v[14:15], off offset:1264
	ds_read_b128 v[2:5], v255 offset:17472
	ds_write_b128 v255, v[10:13] offset:16016
	s_waitcnt vmcnt(0) lgkmcnt(1)
	v_mul_f64 v[10:11], v[4:5], v[8:9]
	v_fma_f64 v[10:11], v[2:3], v[6:7], -v[10:11]
	v_mul_f64 v[2:3], v[2:3], v[8:9]
	v_fma_f64 v[12:13], v[4:5], v[6:7], v[2:3]
	global_load_dwordx4 v[6:9], v[14:15], off offset:2720
	ds_read_b128 v[2:5], v255 offset:18928
	ds_write_b128 v255, v[10:13] offset:17472
	s_waitcnt vmcnt(0) lgkmcnt(1)
	v_mul_f64 v[10:11], v[4:5], v[8:9]
	v_fma_f64 v[10:11], v[2:3], v[6:7], -v[10:11]
	v_mul_f64 v[2:3], v[2:3], v[8:9]
	v_fma_f64 v[12:13], v[4:5], v[6:7], v[2:3]
	ds_read_b128 v[2:5], v255 offset:20384
	ds_write_b128 v255, v[10:13] offset:18928
	v_add_co_u32_e32 v12, vcc, s10, v0
	v_addc_co_u32_e32 v13, vcc, 0, v1, vcc
	global_load_dwordx4 v[6:9], v[12:13], off offset:80
	s_waitcnt vmcnt(0) lgkmcnt(1)
	v_mul_f64 v[0:1], v[4:5], v[8:9]
	v_fma_f64 v[0:1], v[2:3], v[6:7], -v[0:1]
	v_mul_f64 v[2:3], v[2:3], v[8:9]
	v_fma_f64 v[2:3], v[4:5], v[6:7], v[2:3]
	global_load_dwordx4 v[4:7], v[12:13], off offset:1536
	ds_write_b128 v255, v[0:3] offset:20384
	ds_read_b128 v[0:3], v255 offset:21840
	s_waitcnt vmcnt(0) lgkmcnt(0)
	v_mul_f64 v[8:9], v[2:3], v[6:7]
	v_fma_f64 v[8:9], v[0:1], v[4:5], -v[8:9]
	v_mul_f64 v[0:1], v[0:1], v[6:7]
	v_fma_f64 v[10:11], v[2:3], v[4:5], v[0:1]
	global_load_dwordx4 v[4:7], v[12:13], off offset:2992
	ds_read_b128 v[0:3], v255 offset:23296
	ds_write_b128 v255, v[8:11] offset:21840
	s_waitcnt vmcnt(0) lgkmcnt(1)
	v_mul_f64 v[8:9], v[2:3], v[6:7]
	v_fma_f64 v[8:9], v[0:1], v[4:5], -v[8:9]
	v_mul_f64 v[0:1], v[0:1], v[6:7]
	v_fma_f64 v[10:11], v[2:3], v[4:5], v[0:1]
	ds_write_b128 v255, v[8:11] offset:23296
.LBB0_13:
	s_or_b64 exec, exec, s[8:9]
	s_waitcnt lgkmcnt(0)
	s_barrier
	s_and_saveexec_b64 s[8:9], s[0:1]
	s_cbranch_execz .LBB0_15
; %bb.14:
	ds_read_b128 v[112:115], v255
	ds_read_b128 v[116:119], v255 offset:1456
	ds_read_b128 v[120:123], v255 offset:2912
	;; [unrolled: 1-line block ×16, first 2 shown]
.LBB0_15:
	s_or_b64 exec, exec, s[8:9]
	s_waitcnt lgkmcnt(0)
	v_add_f64 v[207:208], v[118:119], v[40:41]
	v_add_f64 v[209:210], v[118:119], -v[40:41]
	v_add_f64 v[215:216], v[122:123], v[44:45]
	s_mov_b32 s10, 0xc61f0d01
	s_mov_b32 s18, 0x6ed5f1bb
	;; [unrolled: 1-line block ×8, first 2 shown]
	v_mul_f64 v[6:7], v[207:208], s[10:11]
	v_mul_f64 v[8:9], v[209:210], s[26:27]
	;; [unrolled: 1-line block ×4, first 2 shown]
	s_mov_b32 s16, 0xeb564b22
	buffer_store_dword v6, off, s[64:67], 0 offset:28 ; 4-byte Folded Spill
	s_nop 0
	buffer_store_dword v7, off, s[64:67], 0 offset:32 ; 4-byte Folded Spill
	buffer_store_dword v8, off, s[64:67], 0 offset:4 ; 4-byte Folded Spill
	s_nop 0
	buffer_store_dword v9, off, s[64:67], 0 offset:8 ; 4-byte Folded Spill
	;; [unrolled: 3-line block ×4, first 2 shown]
	s_mov_b32 s17, 0xbfefdd0d
	v_add_f64 v[205:206], v[116:117], v[38:39]
	v_mul_f64 v[108:109], v[209:210], s[16:17]
	v_add_f64 v[217:218], v[122:123], -v[44:45]
	s_mov_b32 s8, 0x3259b75e
	s_mov_b32 s30, 0xacd6c6b4
	;; [unrolled: 1-line block ×4, first 2 shown]
	v_add_f64 v[211:212], v[116:117], -v[38:39]
	v_mul_f64 v[110:111], v[207:208], s[8:9]
	v_fma_f64 v[0:1], v[205:206], s[8:9], -v[108:109]
	v_add_f64 v[213:214], v[120:121], v[42:43]
	v_mul_f64 v[202:203], v[217:218], s[30:31]
	v_add_f64 v[221:222], v[120:121], -v[42:43]
	s_mov_b32 s28, 0x4363dd80
	s_mov_b32 s29, 0xbfe0d888
	s_mov_b32 s43, 0x3fe0d888
	v_fma_f64 v[2:3], v[211:212], s[16:17], v[110:111]
	v_add_f64 v[0:1], v[112:113], v[0:1]
	s_mov_b32 s42, s28
	v_fma_f64 v[28:29], v[213:214], s[24:25], -v[202:203]
	s_mov_b32 s22, 0x910ea3b9
	s_mov_b32 s23, 0xbfeb34fa
	;; [unrolled: 1-line block ×4, first 2 shown]
	v_add_f64 v[2:3], v[114:115], v[2:3]
	v_mul_f64 v[36:37], v[209:210], s[20:21]
	s_mov_b32 s47, 0x3feec746
	v_add_f64 v[0:1], v[28:29], v[0:1]
	s_mov_b32 s46, s20
	v_mul_f64 v[50:51], v[215:216], s[10:11]
	v_mul_f64 v[12:13], v[209:210], s[28:29]
	s_mov_b32 s48, 0x7c9e640b
	s_mov_b32 s49, 0x3feca52d
	v_fma_f64 v[4:5], v[205:206], s[10:11], -v[36:37]
	s_mov_b32 s34, 0x2b2883cd
	s_mov_b32 s35, 0x3fdc86fa
	v_mul_f64 v[16:17], v[207:208], s[22:23]
	v_mul_f64 v[20:21], v[209:210], s[30:31]
	v_fma_f64 v[14:15], v[205:206], s[22:23], v[12:13]
	v_fma_f64 v[12:13], v[205:206], s[22:23], -v[12:13]
	s_mov_b32 s50, 0x5d8e7cdc
	v_add_f64 v[4:5], v[112:113], v[4:5]
	s_mov_b32 s51, 0x3fd71e95
	s_mov_b32 s38, 0x370991
	v_fma_f64 v[18:19], v[211:212], s[42:43], v[16:17]
	v_fma_f64 v[16:17], v[211:212], s[28:29], v[16:17]
	v_add_f64 v[14:15], v[112:113], v[14:15]
	v_add_f64 v[12:13], v[112:113], v[12:13]
	v_fma_f64 v[22:23], v[205:206], s[24:25], v[20:21]
	s_mov_b32 s37, 0xbfeca52d
	s_mov_b32 s36, s48
	;; [unrolled: 1-line block ×3, first 2 shown]
	v_mul_f64 v[24:25], v[207:208], s[24:25]
	v_add_f64 v[16:17], v[114:115], v[16:17]
	v_fma_f64 v[20:21], v[205:206], s[24:25], -v[20:21]
	s_mov_b32 s53, 0x3fc7851a
	v_add_f64 v[22:23], v[112:113], v[22:23]
	s_mov_b32 s52, s30
	v_add_f64 v[227:228], v[130:131], -v[48:49]
	v_add_f64 v[18:19], v[114:115], v[18:19]
	v_fma_f64 v[26:27], v[211:212], s[52:53], v[24:25]
	v_fma_f64 v[24:25], v[211:212], s[30:31], v[24:25]
	v_add_f64 v[20:21], v[112:113], v[20:21]
	v_add_f64 v[223:224], v[130:131], v[48:49]
	s_mov_b32 s41, 0xbfd71e95
	s_mov_b32 s40, s50
	v_add_f64 v[219:220], v[128:129], v[46:47]
	v_add_f64 v[225:226], v[128:129], -v[46:47]
	s_mov_b32 s56, 0x2a9d6da3
	v_add_f64 v[24:25], v[114:115], v[24:25]
	s_mov_b32 s57, 0x3fe58eea
	s_mov_b32 s44, 0x75d4884
	;; [unrolled: 1-line block ×3, first 2 shown]
	v_add_f64 v[26:27], v[114:115], v[26:27]
	v_fma_f64 v[6:7], v[211:212], s[20:21], v[6:7]
	v_fma_f64 v[8:9], v[205:206], s[18:19], -v[8:9]
	v_fma_f64 v[10:11], v[211:212], s[26:27], v[10:11]
	v_fma_f64 v[28:29], v[221:222], s[30:31], v[30:31]
	v_mul_f64 v[30:31], v[215:216], s[22:23]
	s_mov_b32 s59, 0x3fefdd0d
	s_mov_b32 s58, s16
	v_add_f64 v[235:236], v[142:143], -v[106:107]
	v_add_f64 v[6:7], v[114:115], v[6:7]
	v_add_f64 v[8:9], v[112:113], v[8:9]
	;; [unrolled: 1-line block ×4, first 2 shown]
	v_mul_f64 v[28:29], v[217:218], s[42:43]
	buffer_store_dword v28, off, s[64:67], 0 offset:256 ; 4-byte Folded Spill
	s_nop 0
	buffer_store_dword v29, off, s[64:67], 0 offset:260 ; 4-byte Folded Spill
	buffer_store_dword v30, off, s[64:67], 0 offset:304 ; 4-byte Folded Spill
	s_nop 0
	buffer_store_dword v31, off, s[64:67], 0 offset:308 ; 4-byte Folded Spill
	v_add_f64 v[231:232], v[142:143], v[106:107]
	v_add_f64 v[229:230], v[140:141], v[104:105]
	v_add_f64 v[233:234], v[140:141], -v[104:105]
	s_mov_b32 s61, 0x3fe9895b
	s_mov_b32 s60, s26
	v_add_f64 v[243:244], v[150:151], -v[126:127]
	v_add_f64 v[239:240], v[150:151], v[126:127]
	s_mov_b32 s55, 0xbfe58eea
	s_mov_b32 s54, s56
	v_add_f64 v[237:238], v[148:149], v[124:125]
	v_add_f64 v[241:242], v[148:149], -v[124:125]
	v_add_f64 v[249:250], v[154:155], -v[134:135]
	v_add_f64 v[247:248], v[154:155], v[134:135]
	v_add_f64 v[245:246], v[152:153], v[132:133]
	v_mul_f64 v[200:201], v[239:240], s[8:9]
	v_add_f64 v[251:252], v[152:153], -v[132:133]
	v_add_f64 v[253:254], v[160:161], v[136:137]
	v_mul_f64 v[194:195], v[249:250], s[54:55]
	v_fma_f64 v[28:29], v[213:214], s[22:23], -v[28:29]
	v_add_f64 v[4:5], v[28:29], v[4:5]
	v_fma_f64 v[28:29], v[221:222], s[42:43], v[30:31]
	v_add_f64 v[6:7], v[28:29], v[6:7]
	v_mul_f64 v[28:29], v[217:218], s[46:47]
	buffer_store_dword v28, off, s[64:67], 0 offset:336 ; 4-byte Folded Spill
	s_nop 0
	buffer_store_dword v29, off, s[64:67], 0 offset:340 ; 4-byte Folded Spill
	v_fma_f64 v[28:29], v[213:214], s[10:11], -v[28:29]
	v_add_f64 v[8:9], v[28:29], v[8:9]
	v_fma_f64 v[28:29], v[221:222], s[46:47], v[50:51]
	v_add_f64 v[10:11], v[28:29], v[10:11]
	v_mul_f64 v[28:29], v[217:218], s[48:49]
	v_fma_f64 v[30:31], v[213:214], s[34:35], v[28:29]
	v_fma_f64 v[28:29], v[213:214], s[34:35], -v[28:29]
	v_add_f64 v[14:15], v[30:31], v[14:15]
	v_mul_f64 v[30:31], v[215:216], s[34:35]
	v_add_f64 v[12:13], v[28:29], v[12:13]
	v_fma_f64 v[28:29], v[221:222], s[48:49], v[30:31]
	v_fma_f64 v[32:33], v[221:222], s[36:37], v[30:31]
	v_add_f64 v[16:17], v[28:29], v[16:17]
	v_mul_f64 v[28:29], v[217:218], s[50:51]
	v_add_f64 v[18:19], v[32:33], v[18:19]
	v_fma_f64 v[30:31], v[213:214], s[38:39], v[28:29]
	v_fma_f64 v[28:29], v[213:214], s[38:39], -v[28:29]
	v_add_f64 v[22:23], v[30:31], v[22:23]
	v_mul_f64 v[30:31], v[215:216], s[38:39]
	v_add_f64 v[20:21], v[28:29], v[20:21]
	v_fma_f64 v[28:29], v[221:222], s[50:51], v[30:31]
	v_fma_f64 v[32:33], v[221:222], s[40:41], v[30:31]
	v_mul_f64 v[30:31], v[223:224], s[10:11]
	v_add_f64 v[24:25], v[28:29], v[24:25]
	v_mul_f64 v[28:29], v[227:228], s[46:47]
	buffer_store_dword v28, off, s[64:67], 0 offset:288 ; 4-byte Folded Spill
	s_nop 0
	buffer_store_dword v29, off, s[64:67], 0 offset:292 ; 4-byte Folded Spill
	buffer_store_dword v30, off, s[64:67], 0 offset:320 ; 4-byte Folded Spill
	s_nop 0
	buffer_store_dword v31, off, s[64:67], 0 offset:324 ; 4-byte Folded Spill
	v_add_f64 v[26:27], v[32:33], v[26:27]
	v_fma_f64 v[28:29], v[219:220], s[10:11], -v[28:29]
	v_add_f64 v[0:1], v[28:29], v[0:1]
	v_fma_f64 v[28:29], v[225:226], s[46:47], v[30:31]
	v_mul_f64 v[30:31], v[223:224], s[44:45]
	v_add_f64 v[2:3], v[28:29], v[2:3]
	v_mul_f64 v[28:29], v[227:228], s[56:57]
	buffer_store_dword v28, off, s[64:67], 0 offset:352 ; 4-byte Folded Spill
	s_nop 0
	buffer_store_dword v29, off, s[64:67], 0 offset:356 ; 4-byte Folded Spill
	buffer_store_dword v30, off, s[64:67], 0 offset:368 ; 4-byte Folded Spill
	s_nop 0
	buffer_store_dword v31, off, s[64:67], 0 offset:372 ; 4-byte Folded Spill
	v_fma_f64 v[28:29], v[219:220], s[44:45], -v[28:29]
	v_add_f64 v[4:5], v[28:29], v[4:5]
	v_fma_f64 v[28:29], v[225:226], s[56:57], v[30:31]
	v_mul_f64 v[30:31], v[223:224], s[38:39]
	v_add_f64 v[6:7], v[28:29], v[6:7]
	v_mul_f64 v[28:29], v[227:228], s[40:41]
	buffer_store_dword v28, off, s[64:67], 0 offset:400 ; 4-byte Folded Spill
	s_nop 0
	buffer_store_dword v29, off, s[64:67], 0 offset:404 ; 4-byte Folded Spill
	buffer_store_dword v30, off, s[64:67], 0 offset:408 ; 4-byte Folded Spill
	s_nop 0
	buffer_store_dword v31, off, s[64:67], 0 offset:412 ; 4-byte Folded Spill
	v_fma_f64 v[28:29], v[219:220], s[38:39], -v[28:29]
	v_add_f64 v[8:9], v[28:29], v[8:9]
	v_fma_f64 v[28:29], v[225:226], s[40:41], v[30:31]
	v_add_f64 v[10:11], v[28:29], v[10:11]
	v_mul_f64 v[28:29], v[227:228], s[16:17]
	v_fma_f64 v[30:31], v[219:220], s[8:9], v[28:29]
	v_fma_f64 v[28:29], v[219:220], s[8:9], -v[28:29]
	v_add_f64 v[14:15], v[30:31], v[14:15]
	v_mul_f64 v[30:31], v[223:224], s[8:9]
	v_add_f64 v[12:13], v[28:29], v[12:13]
	v_fma_f64 v[28:29], v[225:226], s[16:17], v[30:31]
	v_fma_f64 v[32:33], v[225:226], s[58:59], v[30:31]
	v_add_f64 v[16:17], v[28:29], v[16:17]
	v_mul_f64 v[28:29], v[227:228], s[28:29]
	v_add_f64 v[18:19], v[32:33], v[18:19]
	v_fma_f64 v[30:31], v[219:220], s[22:23], v[28:29]
	v_fma_f64 v[28:29], v[219:220], s[22:23], -v[28:29]
	v_add_f64 v[22:23], v[30:31], v[22:23]
	v_mul_f64 v[30:31], v[223:224], s[22:23]
	v_add_f64 v[20:21], v[28:29], v[20:21]
	v_fma_f64 v[28:29], v[225:226], s[28:29], v[30:31]
	v_fma_f64 v[32:33], v[225:226], s[42:43], v[30:31]
	v_mul_f64 v[30:31], v[231:232], s[38:39]
	v_add_f64 v[24:25], v[28:29], v[24:25]
	v_mul_f64 v[28:29], v[235:236], s[50:51]
	buffer_store_dword v28, off, s[64:67], 0 offset:360 ; 4-byte Folded Spill
	s_nop 0
	buffer_store_dword v29, off, s[64:67], 0 offset:364 ; 4-byte Folded Spill
	buffer_store_dword v30, off, s[64:67], 0 offset:376 ; 4-byte Folded Spill
	s_nop 0
	buffer_store_dword v31, off, s[64:67], 0 offset:380 ; 4-byte Folded Spill
	v_add_f64 v[26:27], v[32:33], v[26:27]
	v_fma_f64 v[28:29], v[229:230], s[38:39], -v[28:29]
	v_add_f64 v[0:1], v[28:29], v[0:1]
	v_fma_f64 v[28:29], v[233:234], s[50:51], v[30:31]
	v_mul_f64 v[30:31], v[231:232], s[34:35]
	v_add_f64 v[2:3], v[28:29], v[2:3]
	v_mul_f64 v[28:29], v[235:236], s[36:37]
	buffer_store_dword v28, off, s[64:67], 0 offset:384 ; 4-byte Folded Spill
	s_nop 0
	buffer_store_dword v29, off, s[64:67], 0 offset:388 ; 4-byte Folded Spill
	buffer_store_dword v30, off, s[64:67], 0 offset:424 ; 4-byte Folded Spill
	s_nop 0
	buffer_store_dword v31, off, s[64:67], 0 offset:428 ; 4-byte Folded Spill
	v_fma_f64 v[28:29], v[229:230], s[34:35], -v[28:29]
	v_add_f64 v[4:5], v[28:29], v[4:5]
	v_fma_f64 v[28:29], v[233:234], s[36:37], v[30:31]
	v_mul_f64 v[30:31], v[231:232], s[22:23]
	v_add_f64 v[6:7], v[28:29], v[6:7]
	v_mul_f64 v[28:29], v[235:236], s[28:29]
	buffer_store_dword v28, off, s[64:67], 0 offset:448 ; 4-byte Folded Spill
	s_nop 0
	buffer_store_dword v29, off, s[64:67], 0 offset:452 ; 4-byte Folded Spill
	;; [unrolled: 56-line block ×3, first 2 shown]
	v_fma_f64 v[28:29], v[237:238], s[8:9], -v[28:29]
	v_add_f64 v[8:9], v[28:29], v[8:9]
	v_fma_f64 v[28:29], v[241:242], s[58:59], v[200:201]
	v_add_f64 v[10:11], v[28:29], v[10:11]
	v_mul_f64 v[28:29], v[243:244], s[40:41]
	v_fma_f64 v[32:33], v[237:238], s[38:39], v[28:29]
	v_fma_f64 v[28:29], v[237:238], s[38:39], -v[28:29]
	v_add_f64 v[14:15], v[32:33], v[14:15]
	v_mul_f64 v[32:33], v[239:240], s[38:39]
	v_add_f64 v[12:13], v[28:29], v[12:13]
	v_fma_f64 v[28:29], v[241:242], s[40:41], v[32:33]
	v_fma_f64 v[34:35], v[241:242], s[50:51], v[32:33]
	v_add_f64 v[16:17], v[28:29], v[16:17]
	v_mul_f64 v[28:29], v[243:244], s[26:27]
	v_add_f64 v[18:19], v[34:35], v[18:19]
	v_fma_f64 v[32:33], v[237:238], s[18:19], v[28:29]
	v_fma_f64 v[28:29], v[237:238], s[18:19], -v[28:29]
	v_add_f64 v[22:23], v[32:33], v[22:23]
	v_mul_f64 v[32:33], v[239:240], s[18:19]
	v_add_f64 v[20:21], v[28:29], v[20:21]
	v_fma_f64 v[28:29], v[241:242], s[26:27], v[32:33]
	v_fma_f64 v[34:35], v[241:242], s[60:61], v[32:33]
	v_add_f64 v[24:25], v[28:29], v[24:25]
	v_mul_f64 v[28:29], v[249:250], s[28:29]
	buffer_store_dword v28, off, s[64:67], 0 offset:432 ; 4-byte Folded Spill
	s_nop 0
	buffer_store_dword v29, off, s[64:67], 0 offset:436 ; 4-byte Folded Spill
	buffer_store_dword v30, off, s[64:67], 0 offset:472 ; 4-byte Folded Spill
	s_nop 0
	buffer_store_dword v31, off, s[64:67], 0 offset:476 ; 4-byte Folded Spill
	v_add_f64 v[26:27], v[34:35], v[26:27]
	v_fma_f64 v[28:29], v[245:246], s[22:23], -v[28:29]
	v_add_f64 v[0:1], v[28:29], v[0:1]
	v_fma_f64 v[28:29], v[251:252], s[28:29], v[30:31]
	v_add_f64 v[164:165], v[28:29], v[2:3]
	v_mul_f64 v[2:3], v[249:250], s[58:59]
	v_mul_f64 v[28:29], v[247:248], s[8:9]
	buffer_store_dword v2, off, s[64:67], 0 offset:480 ; 4-byte Folded Spill
	s_nop 0
	buffer_store_dword v3, off, s[64:67], 0 offset:484 ; 4-byte Folded Spill
	buffer_store_dword v28, off, s[64:67], 0 offset:504 ; 4-byte Folded Spill
	s_nop 0
	buffer_store_dword v29, off, s[64:67], 0 offset:508 ; 4-byte Folded Spill
	v_fma_f64 v[2:3], v[245:246], s[8:9], -v[2:3]
	v_add_f64 v[4:5], v[2:3], v[4:5]
	v_fma_f64 v[2:3], v[251:252], s[58:59], v[28:29]
	v_fma_f64 v[28:29], v[245:246], s[44:45], -v[194:195]
	v_add_f64 v[6:7], v[2:3], v[6:7]
	v_mul_f64 v[2:3], v[247:248], s[44:45]
	v_add_f64 v[166:167], v[28:29], v[8:9]
	v_fma_f64 v[8:9], v[251:252], s[54:55], v[2:3]
	v_add_f64 v[10:11], v[8:9], v[10:11]
	v_mul_f64 v[8:9], v[249:250], s[30:31]
	v_fma_f64 v[28:29], v[245:246], s[24:25], v[8:9]
	v_fma_f64 v[8:9], v[245:246], s[24:25], -v[8:9]
	v_add_f64 v[168:169], v[28:29], v[14:15]
	v_mul_f64 v[14:15], v[247:248], s[24:25]
	v_add_f64 v[172:173], v[8:9], v[12:13]
	v_fma_f64 v[8:9], v[251:252], s[30:31], v[14:15]
	v_fma_f64 v[28:29], v[251:252], s[52:53], v[14:15]
	v_add_f64 v[16:17], v[8:9], v[16:17]
	v_mul_f64 v[8:9], v[249:250], s[48:49]
	v_add_f64 v[170:171], v[28:29], v[18:19]
	v_add_f64 v[18:19], v[162:163], -v[138:139]
	v_fma_f64 v[12:13], v[245:246], s[34:35], v[8:9]
	v_fma_f64 v[8:9], v[245:246], s[34:35], -v[8:9]
	v_add_f64 v[22:23], v[12:13], v[22:23]
	v_mul_f64 v[12:13], v[247:248], s[34:35]
	v_add_f64 v[20:21], v[8:9], v[20:21]
	v_fma_f64 v[14:15], v[251:252], s[36:37], v[12:13]
	v_fma_f64 v[8:9], v[251:252], s[48:49], v[12:13]
	v_add_f64 v[12:13], v[162:163], v[138:139]
	v_add_f64 v[174:175], v[14:15], v[26:27]
	v_mul_f64 v[26:27], v[18:19], s[60:61]
	v_mul_f64 v[28:29], v[12:13], s[18:19]
	buffer_store_dword v28, off, s[64:67], 0 offset:496 ; 4-byte Folded Spill
	s_nop 0
	buffer_store_dword v29, off, s[64:67], 0 offset:500 ; 4-byte Folded Spill
	v_add_f64 v[24:25], v[8:9], v[24:25]
	v_add_f64 v[14:15], v[160:161], -v[136:137]
	v_fma_f64 v[8:9], v[253:254], s[18:19], -v[26:27]
	v_add_f64 v[176:177], v[8:9], v[0:1]
	v_mul_f64 v[8:9], v[12:13], s[38:39]
	v_fma_f64 v[0:1], v[14:15], s[60:61], v[28:29]
	v_add_f64 v[178:179], v[0:1], v[164:165]
	v_mul_f64 v[0:1], v[18:19], s[40:41]
	buffer_store_dword v0, off, s[64:67], 0 offset:520 ; 4-byte Folded Spill
	s_nop 0
	buffer_store_dword v1, off, s[64:67], 0 offset:524 ; 4-byte Folded Spill
	buffer_store_dword v8, off, s[64:67], 0 offset:528 ; 4-byte Folded Spill
	s_nop 0
	buffer_store_dword v9, off, s[64:67], 0 offset:532 ; 4-byte Folded Spill
	v_fma_f64 v[0:1], v[253:254], s[38:39], -v[0:1]
	v_add_f64 v[180:181], v[0:1], v[4:5]
	v_fma_f64 v[0:1], v[14:15], s[40:41], v[8:9]
	v_mul_f64 v[8:9], v[12:13], s[24:25]
	v_add_f64 v[182:183], v[0:1], v[6:7]
	v_mul_f64 v[6:7], v[18:19], s[30:31]
	v_fma_f64 v[0:1], v[253:254], s[24:25], -v[6:7]
	v_add_f64 v[184:185], v[0:1], v[166:167]
	v_fma_f64 v[0:1], v[14:15], s[30:31], v[8:9]
	v_add_f64 v[186:187], v[0:1], v[10:11]
	v_mul_f64 v[0:1], v[18:19], s[56:57]
	v_fma_f64 v[4:5], v[253:254], s[44:45], v[0:1]
	v_fma_f64 v[0:1], v[253:254], s[44:45], -v[0:1]
	v_add_f64 v[168:169], v[4:5], v[168:169]
	v_mul_f64 v[4:5], v[12:13], s[44:45]
	v_add_f64 v[188:189], v[0:1], v[172:173]
	v_fma_f64 v[0:1], v[14:15], s[56:57], v[4:5]
	v_fma_f64 v[10:11], v[14:15], s[54:55], v[4:5]
	v_add_f64 v[190:191], v[0:1], v[16:17]
	v_mul_f64 v[0:1], v[18:19], s[20:21]
	v_add_f64 v[170:171], v[10:11], v[170:171]
	v_add_f64 v[16:17], v[156:157], v[144:145]
	v_fma_f64 v[4:5], v[253:254], s[10:11], v[0:1]
	v_fma_f64 v[0:1], v[253:254], s[10:11], -v[0:1]
	v_add_f64 v[28:29], v[4:5], v[22:23]
	v_mul_f64 v[4:5], v[12:13], s[10:11]
	v_add_f64 v[32:33], v[0:1], v[20:21]
	v_add_f64 v[20:21], v[158:159], v[146:147]
	v_add_f64 v[22:23], v[156:157], -v[144:145]
	v_fma_f64 v[0:1], v[14:15], s[20:21], v[4:5]
	v_fma_f64 v[10:11], v[14:15], s[46:47], v[4:5]
	v_mul_f64 v[196:197], v[20:21], s[44:45]
	v_mul_f64 v[198:199], v[20:21], s[34:35]
	v_add_f64 v[34:35], v[0:1], v[24:25]
	v_add_f64 v[24:25], v[158:159], -v[146:147]
	v_add_f64 v[30:31], v[10:11], v[174:175]
	v_fma_f64 v[174:175], v[22:23], s[48:49], v[198:199]
	v_mul_f64 v[4:5], v[24:25], s[56:57]
	buffer_store_dword v4, off, s[64:67], 0 offset:512 ; 4-byte Folded Spill
	s_nop 0
	buffer_store_dword v5, off, s[64:67], 0 offset:516 ; 4-byte Folded Spill
	v_mul_f64 v[0:1], v[24:25], s[26:27]
	v_add_f64 v[174:175], v[174:175], v[186:187]
	s_waitcnt vmcnt(0)
	s_barrier
	v_fma_f64 v[10:11], v[16:17], s[18:19], -v[0:1]
	v_fma_f64 v[4:5], v[16:17], s[44:45], -v[4:5]
	v_add_f64 v[164:165], v[4:5], v[176:177]
	v_fma_f64 v[4:5], v[22:23], s[56:57], v[196:197]
	v_add_f64 v[176:177], v[10:11], v[180:181]
	v_mul_f64 v[180:181], v[24:25], s[20:21]
	v_add_f64 v[166:167], v[4:5], v[178:179]
	v_mul_f64 v[4:5], v[20:21], s[18:19]
	v_fma_f64 v[10:11], v[22:23], s[26:27], v[4:5]
	v_add_f64 v[178:179], v[10:11], v[182:183]
	v_mul_f64 v[10:11], v[24:25], s[48:49]
	v_fma_f64 v[182:183], v[16:17], s[10:11], v[180:181]
	v_fma_f64 v[180:181], v[16:17], s[10:11], -v[180:181]
	v_fma_f64 v[172:173], v[16:17], s[34:35], -v[10:11]
	v_add_f64 v[168:169], v[182:183], v[168:169]
	v_mul_f64 v[182:183], v[20:21], s[10:11]
	v_add_f64 v[180:181], v[180:181], v[188:189]
	v_mul_f64 v[188:189], v[24:25], s[58:59]
	v_add_f64 v[172:173], v[172:173], v[184:185]
	v_fma_f64 v[184:185], v[22:23], s[46:47], v[182:183]
	v_fma_f64 v[182:183], v[22:23], s[20:21], v[182:183]
	v_add_f64 v[170:171], v[184:185], v[170:171]
	v_fma_f64 v[184:185], v[16:17], s[8:9], v[188:189]
	v_add_f64 v[182:183], v[182:183], v[190:191]
	v_add_f64 v[184:185], v[184:185], v[28:29]
	v_mul_f64 v[28:29], v[20:21], s[8:9]
	v_fma_f64 v[186:187], v[22:23], s[16:17], v[28:29]
	v_fma_f64 v[28:29], v[22:23], s[58:59], v[28:29]
	v_add_f64 v[186:187], v[186:187], v[30:31]
	v_fma_f64 v[30:31], v[16:17], s[8:9], -v[188:189]
	v_add_f64 v[190:191], v[28:29], v[34:35]
	v_add_f64 v[188:189], v[30:31], v[32:33]
	s_and_saveexec_b64 s[62:63], s[0:1]
	s_cbranch_execz .LBB0_17
; %bb.16:
	buffer_store_dword v26, off, s[64:67], 0 offset:536 ; 4-byte Folded Spill
	s_nop 0
	buffer_store_dword v27, off, s[64:67], 0 offset:540 ; 4-byte Folded Spill
	buffer_load_dword v26, off, s[64:67], 0 offset:456 ; 4-byte Folded Reload
	s_nop 0
	buffer_load_dword v27, off, s[64:67], 0 offset:460 ; 4-byte Folded Reload
	v_mul_f64 v[32:33], v[233:234], s[28:29]
	v_mul_f64 v[34:35], v[225:226], s[40:41]
	;; [unrolled: 1-line block ×3, first 2 shown]
	v_mov_b32_e32 v193, v111
	v_mov_b32_e32 v192, v110
	v_mov_b32_e32 v110, v202
	v_mov_b32_e32 v111, v203
	v_mul_f64 v[202:203], v[16:17], s[34:35]
	v_mul_f64 v[28:29], v[22:23], s[48:49]
	v_add_f64 v[8:9], v[8:9], -v[30:31]
	v_mul_f64 v[30:31], v[251:252], s[54:55]
	v_add_f64 v[10:11], v[202:203], v[10:11]
	v_mul_f64 v[202:203], v[253:254], s[24:25]
	v_add_f64 v[28:29], v[198:199], -v[28:29]
	v_mul_f64 v[198:199], v[221:222], s[46:47]
	v_add_f64 v[2:3], v[2:3], -v[30:31]
	v_mul_f64 v[30:31], v[241:242], s[58:59]
	v_add_f64 v[6:7], v[202:203], v[6:7]
	v_mul_f64 v[202:203], v[219:220], s[38:39]
	v_add_f64 v[198:199], v[50:51], -v[198:199]
	v_add_f64 v[30:31], v[200:201], -v[30:31]
	v_mul_f64 v[200:201], v[211:212], s[26:27]
	s_waitcnt vmcnt(0)
	v_add_f64 v[32:33], v[26:27], -v[32:33]
	buffer_load_dword v26, off, s[64:67], 0 offset:408 ; 4-byte Folded Reload
	buffer_load_dword v27, off, s[64:67], 0 offset:412 ; 4-byte Folded Reload
	s_waitcnt vmcnt(0)
	v_add_f64 v[34:35], v[26:27], -v[34:35]
	buffer_load_dword v26, off, s[64:67], 0 offset:272 ; 4-byte Folded Reload
	buffer_load_dword v27, off, s[64:67], 0 offset:276 ; 4-byte Folded Reload
	s_waitcnt vmcnt(0)
	v_add_f64 v[200:201], v[26:27], -v[200:201]
	buffer_load_dword v26, off, s[64:67], 0 offset:400 ; 4-byte Folded Reload
	buffer_load_dword v27, off, s[64:67], 0 offset:404 ; 4-byte Folded Reload
	v_add_f64 v[200:201], v[114:115], v[200:201]
	v_add_f64 v[198:199], v[198:199], v[200:201]
	v_mul_f64 v[200:201], v[205:206], s[18:19]
	v_add_f64 v[34:35], v[34:35], v[198:199]
	v_mul_f64 v[198:199], v[237:238], s[8:9]
	;; [unrolled: 2-line block ×4, first 2 shown]
	v_add_f64 v[2:3], v[2:3], v[30:31]
	v_add_f64 v[32:33], v[192:193], -v[32:33]
	v_mul_f64 v[30:31], v[221:222], s[30:31]
	v_add_f64 v[2:3], v[8:9], v[2:3]
	v_add_f64 v[32:33], v[114:115], v[32:33]
	v_mul_f64 v[8:9], v[241:242], s[30:31]
	s_waitcnt vmcnt(0)
	v_add_f64 v[202:203], v[202:203], v[26:27]
	buffer_load_dword v26, off, s[64:67], 0 offset:4 ; 4-byte Folded Reload
	buffer_load_dword v27, off, s[64:67], 0 offset:8 ; 4-byte Folded Reload
	;; [unrolled: 1-line block ×4, first 2 shown]
	s_nop 0
	buffer_store_dword v72, off, s[64:67], 0 offset:272 ; 4-byte Folded Spill
	s_nop 0
	buffer_store_dword v73, off, s[64:67], 0 offset:276 ; 4-byte Folded Spill
	buffer_store_dword v74, off, s[64:67], 0 offset:280 ; 4-byte Folded Spill
	;; [unrolled: 1-line block ×4, first 2 shown]
	s_nop 0
	buffer_store_dword v39, off, s[64:67], 0 offset:8 ; 4-byte Folded Spill
	buffer_store_dword v40, off, s[64:67], 0 offset:12 ; 4-byte Folded Spill
	buffer_store_dword v41, off, s[64:67], 0 offset:16 ; 4-byte Folded Spill
	buffer_load_dword v40, off, s[64:67], 0 offset:448 ; 4-byte Folded Reload
	s_nop 0
	buffer_load_dword v41, off, s[64:67], 0 offset:452 ; 4-byte Folded Reload
	v_mov_b32_e32 v72, v104
	v_mov_b32_e32 v73, v105
	;; [unrolled: 1-line block ×6, first 2 shown]
	s_waitcnt vmcnt(12)
	v_add_f64 v[200:201], v[200:201], v[26:27]
	v_mov_b32_e32 v26, v36
	v_mov_b32_e32 v27, v37
	v_mul_f64 v[36:37], v[213:214], s[10:11]
	v_add_f64 v[38:39], v[112:113], v[200:201]
	v_mul_f64 v[200:201], v[245:246], s[44:45]
	s_waitcnt vmcnt(10)
	v_add_f64 v[36:37], v[36:37], v[50:51]
	v_add_f64 v[194:195], v[200:201], v[194:195]
	v_mul_f64 v[200:201], v[221:222], s[42:43]
	v_add_f64 v[36:37], v[36:37], v[38:39]
	v_mul_f64 v[38:39], v[229:230], s[22:23]
	v_add_f64 v[36:37], v[202:203], v[36:37]
	s_waitcnt vmcnt(0)
	v_add_f64 v[38:39], v[38:39], v[40:41]
	buffer_load_dword v40, off, s[64:67], 0 offset:488 ; 4-byte Folded Reload
	buffer_load_dword v41, off, s[64:67], 0 offset:492 ; 4-byte Folded Reload
	v_mul_f64 v[202:203], v[205:206], s[8:9]
	v_add_f64 v[36:37], v[38:39], v[36:37]
	v_mul_f64 v[38:39], v[233:234], s[36:37]
	s_waitcnt vmcnt(0)
	v_add_f64 v[198:199], v[198:199], v[40:41]
	buffer_load_dword v40, off, s[64:67], 0 offset:28 ; 4-byte Folded Reload
	buffer_load_dword v41, off, s[64:67], 0 offset:32 ; 4-byte Folded Reload
	v_add_f64 v[36:37], v[198:199], v[36:37]
	v_mul_f64 v[198:199], v[205:206], s[10:11]
	v_add_f64 v[36:37], v[194:195], v[36:37]
	v_mul_f64 v[194:195], v[213:214], s[22:23]
	;; [unrolled: 2-line block ×3, first 2 shown]
	s_waitcnt vmcnt(0)
	v_add_f64 v[34:35], v[40:41], -v[34:35]
	buffer_load_dword v40, off, s[64:67], 0 offset:424 ; 4-byte Folded Reload
	buffer_load_dword v41, off, s[64:67], 0 offset:428 ; 4-byte Folded Reload
	s_nop 0
	buffer_store_dword v76, off, s[64:67], 0 offset:336 ; 4-byte Folded Spill
	s_nop 0
	buffer_store_dword v77, off, s[64:67], 0 offset:340 ; 4-byte Folded Spill
	buffer_store_dword v78, off, s[64:67], 0 offset:344 ; 4-byte Folded Spill
	;; [unrolled: 1-line block ×3, first 2 shown]
	v_mov_b32_e32 v79, v45
	v_mov_b32_e32 v78, v44
	v_mov_b32_e32 v77, v43
	v_mov_b32_e32 v76, v42
	buffer_load_dword v42, off, s[64:67], 0 offset:304 ; 4-byte Folded Reload
	buffer_load_dword v43, off, s[64:67], 0 offset:308 ; 4-byte Folded Reload
	;; [unrolled: 1-line block ×4, first 2 shown]
	s_nop 0
	buffer_store_dword v80, off, s[64:67], 0 offset:304 ; 4-byte Folded Spill
	s_nop 0
	buffer_store_dword v81, off, s[64:67], 0 offset:308 ; 4-byte Folded Spill
	buffer_store_dword v82, off, s[64:67], 0 offset:312 ; 4-byte Folded Spill
	;; [unrolled: 1-line block ×3, first 2 shown]
	v_mov_b32_e32 v83, v49
	v_mov_b32_e32 v82, v48
	;; [unrolled: 1-line block ×4, first 2 shown]
	v_add_f64 v[46:47], v[198:199], v[26:27]
	buffer_load_dword v26, off, s[64:67], 0 offset:504 ; 4-byte Folded Reload
	buffer_load_dword v27, off, s[64:67], 0 offset:508 ; 4-byte Folded Reload
	;; [unrolled: 1-line block ×6, first 2 shown]
	s_nop 0
	buffer_store_dword v52, off, s[64:67], 0 offset:28 ; 4-byte Folded Spill
	s_nop 0
	buffer_store_dword v53, off, s[64:67], 0 offset:32 ; 4-byte Folded Spill
	buffer_store_dword v54, off, s[64:67], 0 offset:36 ; 4-byte Folded Spill
	;; [unrolled: 1-line block ×3, first 2 shown]
	buffer_load_dword v54, off, s[64:67], 0 offset:352 ; 4-byte Folded Reload
	s_nop 0
	buffer_load_dword v55, off, s[64:67], 0 offset:356 ; 4-byte Folded Reload
	s_nop 0
	buffer_store_dword v56, off, s[64:67], 0 offset:256 ; 4-byte Folded Spill
	s_nop 0
	buffer_store_dword v57, off, s[64:67], 0 offset:260 ; 4-byte Folded Spill
	buffer_store_dword v58, off, s[64:67], 0 offset:264 ; 4-byte Folded Spill
	;; [unrolled: 1-line block ×3, first 2 shown]
	buffer_load_dword v58, off, s[64:67], 0 offset:384 ; 4-byte Folded Reload
	s_nop 0
	buffer_load_dword v59, off, s[64:67], 0 offset:388 ; 4-byte Folded Reload
	buffer_load_dword v192, off, s[64:67], 0 offset:44 ; 4-byte Folded Reload
	;; [unrolled: 1-line block ×3, first 2 shown]
	v_mul_f64 v[198:199], v[219:220], s[44:45]
	v_add_f64 v[34:35], v[114:115], v[34:35]
	v_add_f64 v[46:47], v[112:113], v[46:47]
	v_mul_f64 v[52:53], v[237:238], s[34:35]
	v_mul_f64 v[56:57], v[245:246], s[22:23]
	s_waitcnt vmcnt(32)
	v_add_f64 v[38:39], v[40:41], -v[38:39]
	v_mul_f64 v[40:41], v[225:226], s[56:57]
	s_waitcnt vmcnt(26)
	v_add_f64 v[42:43], v[42:43], -v[200:201]
	;; [unrolled: 3-line block ×3, first 2 shown]
	v_mul_f64 v[44:45], v[219:220], s[10:11]
	v_add_f64 v[34:35], v[42:43], v[34:35]
	s_waitcnt vmcnt(16)
	v_add_f64 v[8:9], v[48:49], -v[8:9]
	s_waitcnt vmcnt(14)
	v_add_f64 v[50:51], v[194:195], v[50:51]
	v_mul_f64 v[48:49], v[229:230], s[34:35]
	s_waitcnt vmcnt(8)
	v_add_f64 v[54:55], v[198:199], v[54:55]
	buffer_load_dword v198, off, s[64:67], 0 offset:440 ; 4-byte Folded Reload
	buffer_load_dword v199, off, s[64:67], 0 offset:444 ; 4-byte Folded Reload
	;; [unrolled: 1-line block ×4, first 2 shown]
	s_waitcnt vmcnt(4)
	v_add_f64 v[30:31], v[192:193], -v[30:31]
	buffer_store_dword v96, off, s[64:67], 0 offset:44 ; 4-byte Folded Spill
	s_nop 0
	buffer_store_dword v97, off, s[64:67], 0 offset:48 ; 4-byte Folded Spill
	buffer_store_dword v98, off, s[64:67], 0 offset:52 ; 4-byte Folded Spill
	;; [unrolled: 1-line block ×4, first 2 shown]
	s_nop 0
	buffer_store_dword v85, off, s[64:67], 0 offset:324 ; 4-byte Folded Spill
	buffer_store_dword v86, off, s[64:67], 0 offset:328 ; 4-byte Folded Spill
	buffer_store_dword v87, off, s[64:67], 0 offset:332 ; 4-byte Folded Spill
	v_add_f64 v[34:35], v[40:41], v[34:35]
	v_add_f64 v[46:47], v[50:51], v[46:47]
	v_mul_f64 v[42:43], v[251:252], s[58:59]
	v_mul_f64 v[194:195], v[237:238], s[24:25]
	v_add_f64 v[48:49], v[48:49], v[58:59]
	v_mov_b32_e32 v84, v92
	v_add_f64 v[32:33], v[30:31], v[32:33]
	buffer_load_dword v30, off, s[64:67], 0 offset:480 ; 4-byte Folded Reload
	buffer_load_dword v31, off, s[64:67], 0 offset:484 ; 4-byte Folded Reload
	v_add_f64 v[34:35], v[38:39], v[34:35]
	v_add_f64 v[46:47], v[54:55], v[46:47]
	v_add_f64 v[42:43], v[26:27], -v[42:43]
	v_mul_f64 v[26:27], v[233:234], s[50:51]
	v_mul_f64 v[38:39], v[241:242], s[36:37]
	;; [unrolled: 1-line block ×3, first 2 shown]
	v_mov_b32_e32 v85, v93
	v_mov_b32_e32 v86, v94
	v_add_f64 v[8:9], v[8:9], v[34:35]
	v_mul_f64 v[34:35], v[245:246], s[8:9]
	v_add_f64 v[46:47], v[48:49], v[46:47]
	v_mov_b32_e32 v87, v95
	v_mov_b32_e32 v95, v67
	;; [unrolled: 1-line block ×5, first 2 shown]
	v_add_f64 v[8:9], v[42:43], v[8:9]
	v_mul_f64 v[64:65], v[22:23], s[26:27]
	v_mul_f64 v[48:49], v[16:17], s[18:19]
	;; [unrolled: 1-line block ×6, first 2 shown]
	v_mov_b32_e32 v99, v63
	v_mov_b32_e32 v98, v62
	v_add_f64 v[4:5], v[4:5], -v[64:65]
	v_mov_b32_e32 v97, v61
	v_mov_b32_e32 v96, v60
	v_mul_f64 v[62:63], v[22:23], s[56:57]
	v_mul_f64 v[60:61], v[16:17], s[44:45]
	s_waitcnt vmcnt(12)
	v_add_f64 v[194:195], v[194:195], v[198:199]
	s_waitcnt vmcnt(10)
	v_add_f64 v[36:37], v[209:210], -v[36:37]
	v_mul_f64 v[198:199], v[14:15], s[40:41]
	s_waitcnt vmcnt(0)
	v_add_f64 v[34:35], v[34:35], v[30:31]
	v_add_f64 v[30:31], v[28:29], v[2:3]
	buffer_load_dword v2, off, s[64:67], 0 offset:376 ; 4-byte Folded Reload
	buffer_load_dword v3, off, s[64:67], 0 offset:380 ; 4-byte Folded Reload
	v_add_f64 v[28:29], v[36:37], v[32:33]
	v_add_f64 v[32:33], v[194:195], v[46:47]
	buffer_load_dword v36, off, s[64:67], 0 offset:528 ; 4-byte Folded Reload
	buffer_load_dword v37, off, s[64:67], 0 offset:532 ; 4-byte Folded Reload
	;; [unrolled: 1-line block ×6, first 2 shown]
	v_mul_f64 v[194:195], v[24:25], s[50:51]
	s_waitcnt vmcnt(6)
	v_add_f64 v[2:3], v[2:3], -v[26:27]
	v_add_f64 v[26:27], v[202:203], v[108:109]
	s_waitcnt vmcnt(4)
	v_add_f64 v[36:37], v[36:37], -v[198:199]
	s_waitcnt vmcnt(2)
	v_add_f64 v[42:43], v[54:55], v[42:43]
	s_waitcnt vmcnt(0)
	v_add_f64 v[38:39], v[46:47], -v[38:39]
	v_add_f64 v[46:47], v[200:201], v[110:111]
	v_mov_b32_e32 v111, v103
	v_add_f64 v[2:3], v[2:3], v[28:29]
	v_add_f64 v[28:29], v[34:35], v[32:33]
	buffer_load_dword v34, off, s[64:67], 0 offset:472 ; 4-byte Folded Reload
	buffer_load_dword v35, off, s[64:67], 0 offset:476 ; 4-byte Folded Reload
	v_add_f64 v[8:9], v[36:37], v[8:9]
	buffer_load_dword v36, off, s[64:67], 0 offset:288 ; 4-byte Folded Reload
	buffer_load_dword v37, off, s[64:67], 0 offset:292 ; 4-byte Folded Reload
	v_add_f64 v[32:33], v[48:49], v[0:1]
	v_add_f64 v[26:27], v[112:113], v[26:27]
	v_mul_f64 v[48:49], v[233:234], s[46:47]
	v_add_f64 v[2:3], v[38:39], v[2:3]
	v_add_f64 v[38:39], v[42:43], v[28:29]
	;; [unrolled: 1-line block ×3, first 2 shown]
	buffer_store_dword v28, off, s[64:67], 0 offset:288 ; 4-byte Folded Spill
	s_nop 0
	buffer_store_dword v29, off, s[64:67], 0 offset:292 ; 4-byte Folded Spill
	buffer_store_dword v30, off, s[64:67], 0 offset:296 ; 4-byte Folded Spill
	;; [unrolled: 1-line block ×3, first 2 shown]
	v_add_f64 v[30:31], v[4:5], v[8:9]
	buffer_load_dword v4, off, s[64:67], 0 offset:496 ; 4-byte Folded Reload
	buffer_load_dword v5, off, s[64:67], 0 offset:500 ; 4-byte Folded Reload
	;; [unrolled: 1-line block ×4, first 2 shown]
	v_add_f64 v[28:29], v[32:33], v[38:39]
	buffer_load_dword v32, off, s[64:67], 0 offset:392 ; 4-byte Folded Reload
	buffer_load_dword v33, off, s[64:67], 0 offset:396 ; 4-byte Folded Reload
	v_add_f64 v[26:27], v[46:47], v[26:27]
	v_mul_f64 v[8:9], v[211:212], s[36:37]
	v_add_f64 v[0:1], v[196:197], -v[62:63]
	v_mov_b32_e32 v110, v102
	v_mov_b32_e32 v109, v101
	;; [unrolled: 1-line block ×11, first 2 shown]
	s_waitcnt vmcnt(12)
	v_add_f64 v[34:35], v[34:35], -v[50:51]
	s_waitcnt vmcnt(10)
	v_add_f64 v[36:37], v[44:45], v[36:37]
	v_mul_f64 v[44:45], v[227:228], s[52:53]
	v_add_f64 v[2:3], v[34:35], v[2:3]
	v_mul_f64 v[34:35], v[221:222], s[26:27]
	v_add_f64 v[10:11], v[36:37], v[26:27]
	v_fma_f64 v[36:37], v[207:208], s[34:35], v[8:9]
	v_fma_f64 v[8:9], v[207:208], s[34:35], -v[8:9]
	v_mul_f64 v[26:27], v[104:105], s[36:37]
	v_fma_f64 v[42:43], v[215:216], s[18:19], v[34:35]
	s_waitcnt vmcnt(4)
	v_add_f64 v[4:5], v[4:5], -v[192:193]
	s_waitcnt vmcnt(2)
	v_add_f64 v[6:7], v[40:41], v[6:7]
	v_mul_f64 v[40:41], v[225:226], s[52:53]
	s_waitcnt vmcnt(0)
	v_add_f64 v[32:33], v[52:53], v[32:33]
	v_fma_f64 v[34:35], v[215:216], s[18:19], -v[34:35]
	v_add_f64 v[8:9], v[114:115], v[8:9]
	v_fma_f64 v[52:53], v[231:232], s[10:11], v[48:49]
	v_fma_f64 v[48:49], v[231:232], s[10:11], -v[48:49]
	v_add_f64 v[2:3], v[4:5], v[2:3]
	buffer_load_dword v4, off, s[64:67], 0 offset:432 ; 4-byte Folded Reload
	buffer_load_dword v5, off, s[64:67], 0 offset:436 ; 4-byte Folded Reload
	v_add_f64 v[6:7], v[6:7], v[10:11]
	v_fma_f64 v[50:51], v[223:224], s[24:25], v[40:41]
	v_fma_f64 v[40:41], v[223:224], s[24:25], -v[40:41]
	v_add_f64 v[8:9], v[34:35], v[8:9]
	v_mul_f64 v[10:11], v[217:218], s[26:27]
	v_fma_f64 v[38:39], v[205:206], s[34:35], -v[26:27]
	v_add_f64 v[36:37], v[114:115], v[36:37]
	v_add_f64 v[2:3], v[0:1], v[2:3]
	;; [unrolled: 1-line block ×3, first 2 shown]
	buffer_load_dword v32, off, s[64:67], 0 offset:536 ; 4-byte Folded Reload
	buffer_load_dword v33, off, s[64:67], 0 offset:540 ; 4-byte Folded Reload
	v_add_f64 v[8:9], v[40:41], v[8:9]
	v_fma_f64 v[46:47], v[213:214], s[18:19], -v[10:11]
	v_add_f64 v[38:39], v[112:113], v[38:39]
	v_add_f64 v[36:37], v[42:43], v[36:37]
	v_fma_f64 v[42:43], v[219:220], s[24:25], -v[44:45]
	v_mul_f64 v[40:41], v[22:23], s[28:29]
	v_fma_f64 v[10:11], v[213:214], s[18:19], v[10:11]
	v_add_f64 v[8:9], v[48:49], v[8:9]
	buffer_load_dword v48, off, s[64:67], 0 offset:512 ; 4-byte Folded Reload
	buffer_load_dword v49, off, s[64:67], 0 offset:516 ; 4-byte Folded Reload
	v_add_f64 v[38:39], v[46:47], v[38:39]
	v_mul_f64 v[46:47], v[241:242], s[56:57]
	v_add_f64 v[36:37], v[50:51], v[36:37]
	v_mul_f64 v[50:51], v[243:244], s[56:57]
	v_add_f64 v[38:39], v[42:43], v[38:39]
	v_mul_f64 v[42:43], v[251:252], s[40:41]
	v_add_f64 v[36:37], v[52:53], v[36:37]
	v_mul_f64 v[52:53], v[249:250], s[40:41]
	v_fma_f64 v[62:63], v[245:246], s[38:39], -v[52:53]
	v_fma_f64 v[52:53], v[245:246], s[38:39], v[52:53]
	s_waitcnt vmcnt(4)
	v_add_f64 v[4:5], v[56:57], v[4:5]
	v_fma_f64 v[56:57], v[239:240], s[44:45], v[46:47]
	v_fma_f64 v[46:47], v[239:240], s[44:45], -v[46:47]
	v_add_f64 v[4:5], v[4:5], v[6:7]
	v_mul_f64 v[6:7], v[235:236], s[46:47]
	s_waitcnt vmcnt(2)
	v_add_f64 v[32:33], v[58:59], v[32:33]
	v_fma_f64 v[58:59], v[237:238], s[44:45], -v[50:51]
	v_add_f64 v[36:37], v[56:57], v[36:37]
	v_mul_f64 v[56:57], v[18:19], s[16:17]
	v_add_f64 v[8:9], v[46:47], v[8:9]
	v_fma_f64 v[54:55], v[229:230], s[10:11], -v[6:7]
	v_add_f64 v[4:5], v[32:33], v[4:5]
	v_fma_f64 v[32:33], v[20:21], s[22:23], v[40:41]
	v_fma_f64 v[6:7], v[229:230], s[10:11], v[6:7]
	v_fma_f64 v[64:65], v[253:254], s[8:9], -v[56:57]
	s_waitcnt vmcnt(0)
	v_add_f64 v[48:49], v[60:61], v[48:49]
	v_add_f64 v[34:35], v[54:55], v[38:39]
	v_mul_f64 v[38:39], v[14:15], s[16:17]
	v_fma_f64 v[54:55], v[247:248], s[38:39], v[42:43]
	v_fma_f64 v[42:43], v[247:248], s[38:39], -v[42:43]
	v_add_f64 v[0:1], v[48:49], v[4:5]
	v_fma_f64 v[4:5], v[205:206], s[34:35], v[26:27]
	v_mul_f64 v[48:49], v[227:228], s[26:27]
	v_add_f64 v[34:35], v[58:59], v[34:35]
	v_fma_f64 v[58:59], v[12:13], s[8:9], v[38:39]
	v_add_f64 v[36:37], v[54:55], v[36:37]
	v_mul_f64 v[54:55], v[24:25], s[28:29]
	v_fma_f64 v[26:27], v[12:13], s[8:9], -v[38:39]
	v_add_f64 v[8:9], v[42:43], v[8:9]
	v_add_f64 v[4:5], v[112:113], v[4:5]
	v_mul_f64 v[38:39], v[221:222], s[16:17]
	v_add_f64 v[34:35], v[62:63], v[34:35]
	v_mul_f64 v[42:43], v[217:218], s[16:17]
	v_add_f64 v[36:37], v[58:59], v[36:37]
	v_fma_f64 v[58:59], v[16:17], s[22:23], -v[54:55]
	v_fma_f64 v[62:63], v[219:220], s[18:19], -v[48:49]
	v_add_f64 v[8:9], v[26:27], v[8:9]
	v_fma_f64 v[26:27], v[219:220], s[24:25], v[44:45]
	v_add_f64 v[4:5], v[10:11], v[4:5]
	v_add_f64 v[34:35], v[64:65], v[34:35]
	v_mul_f64 v[10:11], v[225:226], s[26:27]
	v_add_f64 v[202:203], v[32:33], v[36:37]
	v_mul_f64 v[32:33], v[211:212], s[54:55]
	v_fma_f64 v[36:37], v[20:21], s[22:23], -v[40:41]
	v_fma_f64 v[46:47], v[215:216], s[8:9], v[38:39]
	v_fma_f64 v[54:55], v[16:17], s[22:23], v[54:55]
	v_add_f64 v[4:5], v[26:27], v[4:5]
	v_add_f64 v[200:201], v[58:59], v[34:35]
	v_mul_f64 v[34:35], v[104:105], s[54:55]
	v_fma_f64 v[58:59], v[213:214], s[8:9], -v[42:43]
	v_fma_f64 v[40:41], v[207:208], s[44:45], v[32:33]
	v_mul_f64 v[26:27], v[233:234], s[30:31]
	v_fma_f64 v[60:61], v[223:224], s[18:19], v[10:11]
	v_fma_f64 v[32:33], v[207:208], s[44:45], -v[32:33]
	v_add_f64 v[4:5], v[6:7], v[4:5]
	v_fma_f64 v[10:11], v[223:224], s[18:19], -v[10:11]
	v_fma_f64 v[44:45], v[205:206], s[44:45], -v[34:35]
	v_fma_f64 v[34:35], v[205:206], s[44:45], v[34:35]
	v_add_f64 v[40:41], v[114:115], v[40:41]
	v_fma_f64 v[6:7], v[231:232], s[24:25], v[26:27]
	v_fma_f64 v[42:43], v[213:214], s[8:9], v[42:43]
	v_add_f64 v[32:33], v[114:115], v[32:33]
	v_fma_f64 v[26:27], v[231:232], s[24:25], -v[26:27]
	v_mul_f64 v[24:25], v[24:25], s[30:31]
	v_add_f64 v[44:45], v[112:113], v[44:45]
	v_add_f64 v[34:35], v[112:113], v[34:35]
	;; [unrolled: 1-line block ×3, first 2 shown]
	v_fma_f64 v[46:47], v[237:238], s[44:45], v[50:51]
	v_mul_f64 v[50:51], v[235:236], s[30:31]
	v_add_f64 v[44:45], v[58:59], v[44:45]
	v_mul_f64 v[58:59], v[241:242], s[42:43]
	v_add_f64 v[40:41], v[60:61], v[40:41]
	v_mul_f64 v[60:61], v[243:244], s[42:43]
	v_fma_f64 v[64:65], v[229:230], s[24:25], -v[50:51]
	v_add_f64 v[4:5], v[46:47], v[4:5]
	v_mul_f64 v[46:47], v[251:252], s[46:47]
	v_add_f64 v[34:35], v[42:43], v[34:35]
	v_add_f64 v[44:45], v[62:63], v[44:45]
	v_fma_f64 v[62:63], v[239:240], s[22:23], v[58:59]
	v_add_f64 v[6:7], v[6:7], v[40:41]
	v_fma_f64 v[40:41], v[253:254], s[8:9], v[56:57]
	v_fma_f64 v[66:67], v[237:238], s[22:23], -v[60:61]
	v_add_f64 v[4:5], v[52:53], v[4:5]
	v_mul_f64 v[52:53], v[14:15], s[48:49]
	v_mul_f64 v[56:57], v[249:250], s[46:47]
	v_add_f64 v[44:45], v[64:65], v[44:45]
	v_fma_f64 v[64:65], v[247:248], s[10:11], v[46:47]
	v_add_f64 v[6:7], v[62:63], v[6:7]
	v_mul_f64 v[62:63], v[18:19], s[48:49]
	v_mul_f64 v[42:43], v[225:226], s[36:37]
	v_add_f64 v[4:5], v[40:41], v[4:5]
	v_mul_f64 v[40:41], v[22:23], s[50:51]
	v_fma_f64 v[192:193], v[245:246], s[10:11], -v[56:57]
	v_add_f64 v[44:45], v[66:67], v[44:45]
	v_fma_f64 v[66:67], v[12:13], s[34:35], v[52:53]
	v_add_f64 v[64:65], v[64:65], v[6:7]
	v_add_f64 v[6:7], v[36:37], v[8:9]
	v_fma_f64 v[8:9], v[215:216], s[8:9], -v[38:39]
	v_add_f64 v[4:5], v[54:55], v[4:5]
	v_fma_f64 v[68:69], v[253:254], s[34:35], -v[62:63]
	v_fma_f64 v[52:53], v[12:13], s[34:35], -v[52:53]
	v_add_f64 v[44:45], v[192:193], v[44:45]
	v_fma_f64 v[36:37], v[20:21], s[38:39], v[40:41]
	v_add_f64 v[54:55], v[66:67], v[64:65]
	v_mul_f64 v[64:65], v[211:212], s[40:41]
	v_add_f64 v[8:9], v[8:9], v[32:33]
	v_fma_f64 v[32:33], v[247:248], s[10:11], -v[46:47]
	v_fma_f64 v[46:47], v[239:240], s[22:23], -v[58:59]
	v_mul_f64 v[58:59], v[221:222], s[54:55]
	v_add_f64 v[44:45], v[68:69], v[44:45]
	v_add_f64 v[68:69], v[112:113], v[116:117]
	v_fma_f64 v[40:41], v[20:21], s[38:39], -v[40:41]
	v_fma_f64 v[66:67], v[207:208], s[38:39], v[64:65]
	v_add_f64 v[8:9], v[10:11], v[8:9]
	v_fma_f64 v[10:11], v[219:220], s[18:19], v[48:49]
	v_add_f64 v[48:49], v[114:115], v[118:119]
	v_fma_f64 v[70:71], v[215:216], s[44:45], v[58:59]
	v_fma_f64 v[64:65], v[207:208], s[38:39], -v[64:65]
	v_mul_f64 v[116:117], v[227:228], s[36:37]
	v_fma_f64 v[58:59], v[215:216], s[44:45], -v[58:59]
	v_add_f64 v[66:67], v[114:115], v[66:67]
	v_add_f64 v[8:9], v[26:27], v[8:9]
	v_fma_f64 v[26:27], v[229:230], s[24:25], v[50:51]
	v_add_f64 v[48:49], v[48:49], v[122:123]
	v_add_f64 v[50:51], v[68:69], v[120:121]
	v_add_f64 v[10:11], v[10:11], v[34:35]
	v_mul_f64 v[34:35], v[233:234], s[16:17]
	v_fma_f64 v[68:69], v[223:224], s[34:35], v[42:43]
	v_add_f64 v[66:67], v[70:71], v[66:67]
	v_add_f64 v[8:9], v[46:47], v[8:9]
	v_fma_f64 v[46:47], v[237:238], s[22:23], v[60:61]
	v_add_f64 v[48:49], v[48:49], v[130:131]
	v_add_f64 v[50:51], v[50:51], v[128:129]
	v_add_f64 v[10:11], v[26:27], v[10:11]
	v_mul_f64 v[26:27], v[241:242], s[20:21]
	v_fma_f64 v[60:61], v[231:232], s[8:9], v[34:35]
	v_add_f64 v[66:67], v[68:69], v[66:67]
	v_add_f64 v[8:9], v[32:33], v[8:9]
	v_fma_f64 v[32:33], v[245:246], s[10:11], v[56:57]
	v_add_f64 v[48:49], v[48:49], v[142:143]
	v_add_f64 v[50:51], v[50:51], v[140:141]
	v_add_f64 v[10:11], v[46:47], v[10:11]
	v_mul_f64 v[46:47], v[251:252], s[26:27]
	v_fma_f64 v[56:57], v[239:240], s[10:11], v[26:27]
	v_add_f64 v[60:61], v[60:61], v[66:67]
	v_add_f64 v[8:9], v[52:53], v[8:9]
	v_fma_f64 v[52:53], v[253:254], s[34:35], v[62:63]
	v_add_f64 v[48:49], v[48:49], v[150:151]
	v_add_f64 v[50:51], v[50:51], v[148:149]
	;; [unrolled: 1-line block ×3, first 2 shown]
	v_fma_f64 v[62:63], v[247:248], s[18:19], v[46:47]
	v_mul_f64 v[68:69], v[217:218], s[54:55]
	v_add_f64 v[56:57], v[56:57], v[60:61]
	v_add_f64 v[10:11], v[40:41], v[8:9]
	;; [unrolled: 1-line block ×6, first 2 shown]
	v_mul_f64 v[66:67], v[235:236], s[16:17]
	v_fma_f64 v[114:115], v[213:214], s[44:45], v[68:69]
	v_add_f64 v[52:53], v[62:63], v[56:57]
	v_mul_f64 v[56:57], v[104:105], s[40:41]
	v_fma_f64 v[68:69], v[213:214], s[44:45], -v[68:69]
	v_add_f64 v[40:41], v[40:41], v[162:163]
	v_add_f64 v[48:49], v[48:49], v[160:161]
	v_fma_f64 v[42:43], v[223:224], s[34:35], -v[42:43]
	v_add_f64 v[58:59], v[58:59], v[64:65]
	v_fma_f64 v[64:65], v[219:220], s[34:35], v[116:117]
	v_mul_f64 v[62:63], v[243:244], s[20:21]
	v_fma_f64 v[70:71], v[205:206], s[38:39], v[56:57]
	v_fma_f64 v[56:57], v[205:206], s[38:39], -v[56:57]
	v_add_f64 v[40:41], v[40:41], v[158:159]
	v_add_f64 v[48:49], v[48:49], v[156:157]
	v_fma_f64 v[34:35], v[231:232], s[8:9], -v[34:35]
	v_add_f64 v[42:43], v[42:43], v[58:59]
	v_fma_f64 v[58:59], v[229:230], s[8:9], v[66:67]
	v_fma_f64 v[66:67], v[229:230], s[8:9], -v[66:67]
	v_add_f64 v[70:71], v[112:113], v[70:71]
	v_add_f64 v[56:57], v[112:113], v[56:57]
	;; [unrolled: 1-line block ×4, first 2 shown]
	v_fma_f64 v[112:113], v[219:220], s[34:35], -v[116:117]
	v_mul_f64 v[60:61], v[249:250], s[26:27]
	v_fma_f64 v[26:27], v[239:240], s[10:11], -v[26:27]
	v_add_f64 v[34:35], v[34:35], v[42:43]
	v_add_f64 v[70:71], v[114:115], v[70:71]
	;; [unrolled: 1-line block ×5, first 2 shown]
	v_fma_f64 v[42:43], v[237:238], s[10:11], v[62:63]
	v_fma_f64 v[62:63], v[237:238], s[10:11], -v[62:63]
	v_mul_f64 v[14:15], v[14:15], s[28:29]
	v_mul_f64 v[18:19], v[18:19], s[28:29]
	v_add_f64 v[64:65], v[64:65], v[70:71]
	v_add_f64 v[56:57], v[112:113], v[56:57]
	;; [unrolled: 1-line block ×4, first 2 shown]
	v_fma_f64 v[46:47], v[247:248], s[18:19], -v[46:47]
	v_add_f64 v[26:27], v[26:27], v[34:35]
	v_fma_f64 v[34:35], v[245:246], s[18:19], v[60:61]
	v_mul_f64 v[22:23], v[22:23], s[30:31]
	v_add_f64 v[58:59], v[58:59], v[64:65]
	v_add_f64 v[56:57], v[66:67], v[56:57]
	;; [unrolled: 1-line block ×4, first 2 shown]
	v_fma_f64 v[50:51], v[12:13], s[22:23], v[14:15]
	v_fma_f64 v[12:13], v[12:13], s[22:23], -v[14:15]
	v_add_f64 v[14:15], v[46:47], v[26:27]
	v_fma_f64 v[26:27], v[253:254], s[22:23], v[18:19]
	v_add_f64 v[42:43], v[42:43], v[58:59]
	v_fma_f64 v[58:59], v[245:246], s[18:19], -v[60:61]
	v_add_f64 v[40:41], v[40:41], v[74:75]
	v_add_f64 v[48:49], v[48:49], v[72:73]
	;; [unrolled: 1-line block ×3, first 2 shown]
	v_fma_f64 v[18:19], v[253:254], s[22:23], -v[18:19]
	v_mov_b32_e32 v64, v92
	v_fma_f64 v[8:9], v[16:17], s[38:39], v[194:195]
	v_add_f64 v[34:35], v[34:35], v[42:43]
	v_mov_b32_e32 v65, v93
	v_add_f64 v[40:41], v[40:41], v[82:83]
	v_add_f64 v[46:47], v[48:49], v[80:81]
	;; [unrolled: 1-line block ×3, first 2 shown]
	v_mov_b32_e32 v66, v94
	v_mov_b32_e32 v67, v95
	;; [unrolled: 1-line block ×4, first 2 shown]
	v_fma_f64 v[48:49], v[20:21], s[24:25], -v[22:23]
	v_add_f64 v[12:13], v[12:13], v[14:15]
	v_fma_f64 v[56:57], v[16:17], s[24:25], v[24:25]
	v_add_f64 v[26:27], v[26:27], v[34:35]
	buffer_load_dword v192, off, s[64:67], 0 ; 4-byte Folded Reload
	v_fma_f64 v[38:39], v[16:17], s[38:39], -v[194:195]
	v_mov_b32_e32 v94, v86
	v_mov_b32_e32 v93, v85
	;; [unrolled: 1-line block ×6, first 2 shown]
	buffer_load_dword v84, off, s[64:67], 0 offset:320 ; 4-byte Folded Reload
	buffer_load_dword v85, off, s[64:67], 0 offset:324 ; 4-byte Folded Reload
	;; [unrolled: 1-line block ×12, first 2 shown]
	v_add_f64 v[40:41], v[40:41], v[78:79]
	v_add_f64 v[46:47], v[46:47], v[76:77]
	buffer_load_dword v76, off, s[64:67], 0 offset:336 ; 4-byte Folded Reload
	buffer_load_dword v77, off, s[64:67], 0 offset:340 ; 4-byte Folded Reload
	;; [unrolled: 1-line block ×4, first 2 shown]
	v_fma_f64 v[24:25], v[16:17], s[24:25], -v[24:25]
	v_add_f64 v[42:43], v[18:19], v[42:43]
	buffer_load_dword v16, off, s[64:67], 0 offset:4 ; 4-byte Folded Reload
	buffer_load_dword v17, off, s[64:67], 0 offset:8 ; 4-byte Folded Reload
	;; [unrolled: 1-line block ×4, first 2 shown]
	v_fma_f64 v[34:35], v[20:21], s[24:25], v[22:23]
	v_add_f64 v[50:51], v[50:51], v[52:53]
	v_add_f64 v[14:15], v[48:49], v[12:13]
	buffer_load_dword v72, off, s[64:67], 0 offset:272 ; 4-byte Folded Reload
	buffer_load_dword v73, off, s[64:67], 0 offset:276 ; 4-byte Folded Reload
	;; [unrolled: 1-line block ×4, first 2 shown]
	v_add_f64 v[12:13], v[56:57], v[26:27]
	buffer_load_dword v56, off, s[64:67], 0 offset:256 ; 4-byte Folded Reload
	buffer_load_dword v57, off, s[64:67], 0 offset:260 ; 4-byte Folded Reload
	;; [unrolled: 1-line block ×4, first 2 shown]
	v_add_f64 v[8:9], v[8:9], v[32:33]
	v_add_f64 v[22:23], v[36:37], v[54:55]
	buffer_load_dword v52, off, s[64:67], 0 offset:28 ; 4-byte Folded Reload
	buffer_load_dword v53, off, s[64:67], 0 offset:32 ; 4-byte Folded Reload
	buffer_load_dword v54, off, s[64:67], 0 offset:36 ; 4-byte Folded Reload
	buffer_load_dword v55, off, s[64:67], 0 offset:40 ; 4-byte Folded Reload
	buffer_load_dword v32, off, s[64:67], 0 offset:60 ; 4-byte Folded Reload
	v_mov_b32_e32 v68, v88
	v_mov_b32_e32 v69, v89
	;; [unrolled: 1-line block ×12, first 2 shown]
	v_add_f64 v[20:21], v[38:39], v[44:45]
	v_add_f64 v[26:27], v[34:35], v[50:51]
	;; [unrolled: 1-line block ×3, first 2 shown]
	s_waitcnt vmcnt(13)
	v_add_f64 v[18:19], v[40:41], v[18:19]
	v_add_f64 v[16:17], v[46:47], v[16:17]
	s_waitcnt vmcnt(0)
	v_lshlrev_b32_e32 v32, 4, v32
	ds_write_b128 v32, v[16:19]
	ds_write_b128 v32, v[12:15] offset:16
	ds_write_b128 v32, v[8:11] offset:32
	;; [unrolled: 1-line block ×5, first 2 shown]
	buffer_load_dword v0, off, s[64:67], 0 offset:288 ; 4-byte Folded Reload
	buffer_load_dword v1, off, s[64:67], 0 offset:292 ; 4-byte Folded Reload
	;; [unrolled: 1-line block ×4, first 2 shown]
	s_waitcnt vmcnt(0)
	ds_write_b128 v32, v[0:3] offset:96
	ds_write_b128 v32, v[168:171] offset:112
	;; [unrolled: 1-line block ×11, first 2 shown]
.LBB0_17:
	s_or_b64 exec, exec, s[62:63]
	s_waitcnt lgkmcnt(0)
	s_barrier
	ds_read_b128 v[0:3], v255
	ds_read_b128 v[120:123], v255 offset:3536
	ds_read_b128 v[116:119], v255 offset:7072
	;; [unrolled: 1-line block ×6, first 2 shown]
	s_and_saveexec_b64 s[8:9], s[2:3]
	s_cbranch_execz .LBB0_19
; %bb.18:
	ds_read_b128 v[168:171], v255 offset:1904
	ds_read_b128 v[184:187], v255 offset:5440
	;; [unrolled: 1-line block ×7, first 2 shown]
.LBB0_19:
	s_or_b64 exec, exec, s[8:9]
	buffer_load_dword v26, off, s[64:67], 0 offset:128 ; 4-byte Folded Reload
	buffer_load_dword v27, off, s[64:67], 0 offset:132 ; 4-byte Folded Reload
	;; [unrolled: 1-line block ×16, first 2 shown]
	s_mov_b32 s18, 0x37e14327
	s_mov_b32 s10, 0x36b3c0b5
	;; [unrolled: 1-line block ×20, first 2 shown]
	s_waitcnt vmcnt(12) lgkmcnt(5)
	v_mul_f64 v[12:13], v[28:29], v[122:123]
	s_waitcnt vmcnt(8) lgkmcnt(4)
	v_mul_f64 v[16:17], v[24:25], v[118:119]
	v_mul_f64 v[18:19], v[24:25], v[116:117]
	s_waitcnt vmcnt(4) lgkmcnt(0)
	v_mul_f64 v[20:21], v[46:47], v[114:115]
	v_mul_f64 v[14:15], v[28:29], v[120:121]
	s_waitcnt vmcnt(0)
	v_mul_f64 v[24:25], v[42:43], v[10:11]
	v_fma_f64 v[12:13], v[26:27], v[120:121], v[12:13]
	v_fma_f64 v[16:17], v[22:23], v[116:117], v[16:17]
	v_fma_f64 v[18:19], v[22:23], v[118:119], -v[18:19]
	v_mul_f64 v[22:23], v[46:47], v[112:113]
	buffer_load_dword v46, off, s[64:67], 0 offset:160 ; 4-byte Folded Reload
	buffer_load_dword v47, off, s[64:67], 0 offset:164 ; 4-byte Folded Reload
	;; [unrolled: 1-line block ×8, first 2 shown]
	v_fma_f64 v[14:15], v[26:27], v[122:123], -v[14:15]
	v_mul_f64 v[26:27], v[42:43], v[8:9]
	v_fma_f64 v[20:21], v[44:45], v[112:113], v[20:21]
	v_fma_f64 v[8:9], v[40:41], v[8:9], v[24:25]
	v_fma_f64 v[22:23], v[44:45], v[114:115], -v[22:23]
	s_waitcnt vmcnt(0)
	s_barrier
	v_fma_f64 v[10:11], v[40:41], v[10:11], -v[26:27]
	v_mul_f64 v[28:29], v[48:49], v[110:111]
	v_mul_f64 v[30:31], v[48:49], v[108:109]
	;; [unrolled: 1-line block ×4, first 2 shown]
	v_fma_f64 v[24:25], v[46:47], v[108:109], v[28:29]
	v_fma_f64 v[26:27], v[46:47], v[110:111], -v[30:31]
	v_fma_f64 v[4:5], v[36:37], v[4:5], v[32:33]
	v_fma_f64 v[6:7], v[36:37], v[6:7], -v[34:35]
	v_add_f64 v[28:29], v[12:13], v[20:21]
	v_add_f64 v[30:31], v[14:15], v[22:23]
	v_add_f64 v[12:13], v[12:13], -v[20:21]
	v_add_f64 v[14:15], v[14:15], -v[22:23]
	v_add_f64 v[20:21], v[16:17], v[24:25]
	v_add_f64 v[22:23], v[18:19], v[26:27]
	v_add_f64 v[16:17], v[16:17], -v[24:25]
	v_add_f64 v[18:19], v[18:19], -v[26:27]
	v_add_f64 v[24:25], v[8:9], v[4:5]
	v_add_f64 v[26:27], v[10:11], v[6:7]
	v_add_f64 v[4:5], v[4:5], -v[8:9]
	v_add_f64 v[6:7], v[6:7], -v[10:11]
	v_add_f64 v[8:9], v[20:21], v[28:29]
	v_add_f64 v[10:11], v[22:23], v[30:31]
	v_add_f64 v[32:33], v[20:21], -v[28:29]
	v_add_f64 v[34:35], v[22:23], -v[30:31]
	v_add_f64 v[28:29], v[28:29], -v[24:25]
	v_add_f64 v[30:31], v[30:31], -v[26:27]
	;; [unrolled: 1-line block ×4, first 2 shown]
	v_add_f64 v[36:37], v[4:5], v[16:17]
	v_add_f64 v[38:39], v[6:7], v[18:19]
	v_add_f64 v[40:41], v[4:5], -v[16:17]
	v_add_f64 v[42:43], v[6:7], -v[18:19]
	v_add_f64 v[8:9], v[24:25], v[8:9]
	v_add_f64 v[10:11], v[26:27], v[10:11]
	v_add_f64 v[16:17], v[16:17], -v[12:13]
	v_add_f64 v[18:19], v[18:19], -v[14:15]
	;; [unrolled: 1-line block ×4, first 2 shown]
	v_add_f64 v[12:13], v[36:37], v[12:13]
	v_add_f64 v[14:15], v[38:39], v[14:15]
	;; [unrolled: 1-line block ×4, first 2 shown]
	v_mul_f64 v[24:25], v[28:29], s[18:19]
	v_mul_f64 v[26:27], v[30:31], s[18:19]
	;; [unrolled: 1-line block ×8, first 2 shown]
	v_fma_f64 v[8:9], v[8:9], s[28:29], v[0:1]
	v_fma_f64 v[10:11], v[10:11], s[28:29], v[2:3]
	;; [unrolled: 1-line block ×4, first 2 shown]
	v_fma_f64 v[28:29], v[32:33], s[16:17], -v[28:29]
	v_fma_f64 v[30:31], v[34:35], s[16:17], -v[30:31]
	;; [unrolled: 1-line block ×4, first 2 shown]
	v_fma_f64 v[32:33], v[4:5], s[30:31], v[36:37]
	v_fma_f64 v[34:35], v[6:7], s[30:31], v[38:39]
	v_fma_f64 v[4:5], v[4:5], s[26:27], -v[40:41]
	v_fma_f64 v[6:7], v[6:7], s[26:27], -v[42:43]
	;; [unrolled: 1-line block ×4, first 2 shown]
	v_add_f64 v[36:37], v[20:21], v[8:9]
	v_add_f64 v[38:39], v[22:23], v[10:11]
	;; [unrolled: 1-line block ×4, first 2 shown]
	v_fma_f64 v[28:29], v[14:15], s[24:25], v[34:35]
	v_fma_f64 v[30:31], v[12:13], s[24:25], v[32:33]
	v_add_f64 v[24:25], v[24:25], v[8:9]
	v_add_f64 v[26:27], v[26:27], v[10:11]
	v_fma_f64 v[32:33], v[14:15], s[24:25], v[6:7]
	v_fma_f64 v[34:35], v[12:13], s[24:25], v[4:5]
	;; [unrolled: 1-line block ×4, first 2 shown]
	v_add_f64 v[4:5], v[28:29], v[36:37]
	v_add_f64 v[6:7], v[38:39], -v[30:31]
	v_add_f64 v[8:9], v[32:33], v[24:25]
	v_add_f64 v[10:11], v[26:27], -v[34:35]
	v_add_f64 v[12:13], v[20:21], -v[18:19]
	v_add_f64 v[14:15], v[40:41], v[22:23]
	v_add_f64 v[16:17], v[18:19], v[20:21]
	v_add_f64 v[18:19], v[22:23], -v[40:41]
	v_add_f64 v[20:21], v[24:25], -v[32:33]
	v_add_f64 v[22:23], v[34:35], v[26:27]
	v_add_f64 v[24:25], v[36:37], -v[28:29]
	v_add_f64 v[26:27], v[30:31], v[38:39]
	ds_write_b128 v204, v[0:3]
	ds_write_b128 v204, v[4:7] offset:272
	ds_write_b128 v204, v[8:11] offset:544
	;; [unrolled: 1-line block ×6, first 2 shown]
	s_and_saveexec_b64 s[34:35], s[2:3]
	s_cbranch_execz .LBB0_21
; %bb.20:
	buffer_load_dword v24, off, s[64:67], 0 offset:192 ; 4-byte Folded Reload
	buffer_load_dword v25, off, s[64:67], 0 offset:196 ; 4-byte Folded Reload
	;; [unrolled: 1-line block ×16, first 2 shown]
	v_mul_f64 v[4:5], v[54:55], v[174:175]
	v_mul_f64 v[6:7], v[58:59], v[182:183]
	v_fma_f64 v[4:5], v[52:53], v[172:173], v[4:5]
	v_fma_f64 v[6:7], v[56:57], v[180:181], v[6:7]
	s_waitcnt vmcnt(12)
	v_mul_f64 v[0:1], v[26:27], v[186:187]
	s_waitcnt vmcnt(8)
	v_mul_f64 v[2:3], v[30:31], v[166:167]
	;; [unrolled: 2-line block ×4, first 2 shown]
	v_mul_f64 v[12:13], v[30:31], v[164:165]
	v_mul_f64 v[14:15], v[26:27], v[184:185]
	;; [unrolled: 1-line block ×5, first 2 shown]
	v_fma_f64 v[0:1], v[24:25], v[184:185], v[0:1]
	v_fma_f64 v[8:9], v[20:21], v[188:189], v[8:9]
	;; [unrolled: 1-line block ×3, first 2 shown]
	v_fma_f64 v[12:13], v[28:29], v[166:167], -v[12:13]
	v_fma_f64 v[14:15], v[24:25], v[186:187], -v[14:15]
	;; [unrolled: 1-line block ×4, first 2 shown]
	v_mul_f64 v[20:21], v[58:59], v[180:181]
	v_fma_f64 v[2:3], v[28:29], v[164:165], v[2:3]
	v_add_f64 v[24:25], v[4:5], -v[6:7]
	v_add_f64 v[26:27], v[8:9], -v[10:11]
	v_fma_f64 v[22:23], v[52:53], v[174:175], -v[22:23]
	v_add_f64 v[28:29], v[14:15], v[12:13]
	v_add_f64 v[8:9], v[8:9], v[10:11]
	;; [unrolled: 1-line block ×3, first 2 shown]
	v_fma_f64 v[20:21], v[56:57], v[182:183], -v[20:21]
	v_add_f64 v[32:33], v[0:1], -v[2:3]
	v_add_f64 v[42:43], v[0:1], v[2:3]
	v_add_f64 v[34:35], v[24:25], -v[26:27]
	v_add_f64 v[40:41], v[24:25], v[26:27]
	v_add_f64 v[4:5], v[6:7], v[4:5]
	v_add_f64 v[16:17], v[18:19], -v[16:17]
	v_add_f64 v[36:37], v[30:31], v[28:29]
	v_add_f64 v[38:39], v[20:21], v[22:23]
	v_add_f64 v[10:11], v[32:33], -v[24:25]
	v_add_f64 v[20:21], v[22:23], -v[20:21]
	v_mul_f64 v[24:25], v[34:35], s[22:23]
	v_add_f64 v[34:35], v[40:41], v[32:33]
	v_add_f64 v[12:13], v[14:15], -v[12:13]
	v_add_f64 v[26:27], v[26:27], -v[32:33]
	v_add_f64 v[0:1], v[38:39], v[36:37]
	v_add_f64 v[18:19], v[28:29], -v[38:39]
	v_add_f64 v[36:37], v[8:9], v[42:43]
	v_fma_f64 v[6:7], v[10:11], s[30:31], v[24:25]
	v_add_f64 v[22:23], v[38:39], -v[30:31]
	v_add_f64 v[14:15], v[20:21], -v[16:17]
	v_add_f64 v[32:33], v[12:13], -v[20:21]
	v_add_f64 v[20:21], v[20:21], v[16:17]
	v_add_f64 v[2:3], v[170:171], v[0:1]
	v_mul_f64 v[18:19], v[18:19], s[18:19]
	v_add_f64 v[36:37], v[4:5], v[36:37]
	v_fma_f64 v[38:39], v[34:35], s[24:25], v[6:7]
	v_add_f64 v[6:7], v[42:43], -v[4:5]
	v_mul_f64 v[44:45], v[22:23], s[10:11]
	v_add_f64 v[4:5], v[4:5], -v[8:9]
	v_mul_f64 v[46:47], v[26:27], s[8:9]
	v_fma_f64 v[40:41], v[0:1], s[28:29], v[2:3]
	v_fma_f64 v[22:23], v[22:23], s[10:11], v[18:19]
	v_add_f64 v[28:29], v[30:31], -v[28:29]
	v_add_f64 v[16:17], v[16:17], -v[12:13]
	v_mul_f64 v[6:7], v[6:7], s[18:19]
	v_add_f64 v[0:1], v[168:169], v[36:37]
	v_mul_f64 v[14:15], v[14:15], s[22:23]
	v_add_f64 v[12:13], v[20:21], v[12:13]
	v_fma_f64 v[10:11], v[10:11], s[26:27], -v[46:47]
	v_add_f64 v[20:21], v[22:23], v[40:41]
	v_fma_f64 v[18:19], v[28:29], s[20:21], -v[18:19]
	v_add_f64 v[8:9], v[8:9], -v[42:43]
	v_fma_f64 v[30:31], v[4:5], s[10:11], v[6:7]
	v_mul_f64 v[4:5], v[4:5], s[10:11]
	v_mul_f64 v[22:23], v[16:17], s[8:9]
	v_fma_f64 v[36:37], v[36:37], s[28:29], v[0:1]
	v_fma_f64 v[48:49], v[32:33], s[30:31], v[14:15]
	v_fma_f64 v[28:29], v[28:29], s[16:17], -v[44:45]
	v_fma_f64 v[24:25], v[26:27], s[8:9], -v[24:25]
	v_fma_f64 v[26:27], v[34:35], s[24:25], v[10:11]
	v_add_f64 v[44:45], v[18:19], v[40:41]
	v_fma_f64 v[10:11], v[8:9], s[20:21], -v[6:7]
	v_fma_f64 v[18:19], v[32:33], s[26:27], -v[22:23]
	;; [unrolled: 1-line block ×4, first 2 shown]
	v_fma_f64 v[42:43], v[12:13], s[24:25], v[48:49]
	v_add_f64 v[16:17], v[28:29], v[40:41]
	v_fma_f64 v[22:23], v[34:35], s[24:25], v[24:25]
	v_add_f64 v[6:7], v[38:39], v[20:21]
	v_add_f64 v[28:29], v[10:11], v[36:37]
	v_fma_f64 v[32:33], v[12:13], s[24:25], v[18:19]
	v_add_f64 v[8:9], v[8:9], v[36:37]
	v_fma_f64 v[12:13], v[12:13], s[24:25], v[14:15]
	v_add_f64 v[10:11], v[26:27], v[44:45]
	v_add_f64 v[30:31], v[30:31], v[36:37]
	v_add_f64 v[14:15], v[16:17], -v[22:23]
	v_add_f64 v[18:19], v[22:23], v[16:17]
	v_add_f64 v[22:23], v[44:45], -v[26:27]
	v_add_f64 v[26:27], v[20:21], -v[38:39]
	v_add_f64 v[20:21], v[32:33], v[28:29]
	v_add_f64 v[16:17], v[8:9], -v[12:13]
	v_add_f64 v[12:13], v[12:13], v[8:9]
	v_add_f64 v[8:9], v[28:29], -v[32:33]
	buffer_load_dword v28, off, s[64:67], 0 offset:64 ; 4-byte Folded Reload
	buffer_load_dword v29, off, s[64:67], 0 offset:72 ; 4-byte Folded Reload
	v_add_f64 v[24:25], v[42:43], v[30:31]
	v_add_f64 v[4:5], v[30:31], -v[42:43]
	s_waitcnt vmcnt(1)
	v_mul_u32_u24_e32 v28, 0x77, v28
	s_waitcnt vmcnt(0)
	v_add_lshl_u32 v28, v28, v29, 4
	ds_write_b128 v28, v[0:3]
	ds_write_b128 v28, v[24:27] offset:272
	ds_write_b128 v28, v[20:23] offset:544
	;; [unrolled: 1-line block ×6, first 2 shown]
.LBB0_21:
	s_or_b64 exec, exec, s[34:35]
	s_waitcnt lgkmcnt(0)
	s_barrier
	ds_read_b128 v[0:3], v255 offset:1904
	buffer_load_dword v24, off, s[64:67], 0 offset:176 ; 4-byte Folded Reload
	buffer_load_dword v25, off, s[64:67], 0 offset:180 ; 4-byte Folded Reload
	buffer_load_dword v26, off, s[64:67], 0 offset:184 ; 4-byte Folded Reload
	buffer_load_dword v27, off, s[64:67], 0 offset:188 ; 4-byte Folded Reload
	ds_read_b128 v[4:7], v255 offset:3808
	ds_read_b128 v[20:23], v255
	ds_read_b128 v[8:11], v255 offset:5712
	s_mov_b32 s2, 0xe00740e9
	s_mov_b32 s3, 0x3fec55a7
	s_waitcnt lgkmcnt(2)
	v_mul_f64 v[16:17], v[102:103], v[6:7]
	v_mul_f64 v[18:19], v[102:103], v[4:5]
	s_mov_b32 s10, 0x4267c47c
	s_mov_b32 s20, 0x42a4c3d2
	;; [unrolled: 1-line block ×6, first 2 shown]
	v_fma_f64 v[44:45], v[100:101], v[4:5], v[16:17]
	v_fma_f64 v[46:47], v[100:101], v[6:7], -v[18:19]
	s_mov_b32 s42, 0x4bc48dbf
	s_mov_b32 s11, 0xbfddbe06
	;; [unrolled: 1-line block ×28, first 2 shown]
	s_waitcnt vmcnt(0)
	v_mul_f64 v[12:13], v[26:27], v[2:3]
	v_mul_f64 v[14:15], v[26:27], v[0:1]
	s_waitcnt lgkmcnt(0)
	v_mul_f64 v[26:27], v[66:67], v[8:9]
	v_fma_f64 v[40:41], v[24:25], v[0:1], v[12:13]
	v_fma_f64 v[42:43], v[24:25], v[2:3], -v[14:15]
	v_mul_f64 v[24:25], v[66:67], v[10:11]
	ds_read_b128 v[0:3], v255 offset:7616
	ds_read_b128 v[12:15], v255 offset:9520
	v_fma_f64 v[50:51], v[64:65], v[10:11], -v[26:27]
	ds_read_b128 v[4:7], v255 offset:11424
	ds_read_b128 v[16:19], v255 offset:13328
	s_waitcnt lgkmcnt(3)
	v_mul_f64 v[32:33], v[62:63], v[2:3]
	v_add_f64 v[28:29], v[20:21], v[40:41]
	v_add_f64 v[30:31], v[22:23], v[42:43]
	v_mul_f64 v[34:35], v[62:63], v[0:1]
	v_fma_f64 v[48:49], v[64:65], v[8:9], v[24:25]
	s_waitcnt lgkmcnt(2)
	v_mul_f64 v[52:53], v[98:99], v[14:15]
	v_mul_f64 v[54:55], v[98:99], v[12:13]
	s_waitcnt lgkmcnt(1)
	v_mul_f64 v[62:63], v[78:79], v[4:5]
	v_fma_f64 v[56:57], v[60:61], v[0:1], v[32:33]
	v_add_f64 v[8:9], v[28:29], v[44:45]
	v_add_f64 v[10:11], v[30:31], v[46:47]
	v_fma_f64 v[58:59], v[60:61], v[2:3], -v[34:35]
	v_mul_f64 v[60:61], v[78:79], v[6:7]
	v_fma_f64 v[12:13], v[96:97], v[12:13], v[52:53]
	v_fma_f64 v[14:15], v[96:97], v[14:15], -v[54:55]
	s_waitcnt lgkmcnt(0)
	v_mul_f64 v[52:53], v[70:71], v[18:19]
	v_mul_f64 v[54:55], v[70:71], v[16:17]
	v_add_f64 v[8:9], v[8:9], v[48:49]
	v_add_f64 v[10:11], v[10:11], v[50:51]
	v_fma_f64 v[6:7], v[76:77], v[6:7], -v[62:63]
	v_fma_f64 v[4:5], v[76:77], v[4:5], v[60:61]
	ds_read_b128 v[24:27], v255 offset:15232
	ds_read_b128 v[28:31], v255 offset:17136
	;; [unrolled: 1-line block ×5, first 2 shown]
	v_add_f64 v[8:9], v[8:9], v[56:57]
	v_add_f64 v[10:11], v[10:11], v[58:59]
	s_waitcnt lgkmcnt(4)
	v_mul_f64 v[64:65], v[74:75], v[26:27]
	v_mul_f64 v[66:67], v[74:75], v[24:25]
	s_waitcnt lgkmcnt(2)
	v_mul_f64 v[70:71], v[86:87], v[2:3]
	v_add_f64 v[60:61], v[8:9], v[12:13]
	v_add_f64 v[62:63], v[10:11], v[14:15]
	v_fma_f64 v[8:9], v[68:69], v[16:17], v[52:53]
	v_fma_f64 v[10:11], v[68:69], v[18:19], -v[54:55]
	s_waitcnt lgkmcnt(0)
	v_mul_f64 v[68:69], v[90:91], v[36:37]
	v_fma_f64 v[16:17], v[72:73], v[24:25], v[64:65]
	v_fma_f64 v[18:19], v[72:73], v[26:27], -v[66:67]
	v_mul_f64 v[64:65], v[82:83], v[34:35]
	v_add_f64 v[52:53], v[60:61], v[4:5]
	v_add_f64 v[54:55], v[62:63], v[6:7]
	v_mul_f64 v[60:61], v[94:95], v[30:31]
	v_mul_f64 v[62:63], v[94:95], v[28:29]
	v_add_f64 v[24:25], v[52:53], v[8:9]
	v_add_f64 v[26:27], v[54:55], v[10:11]
	v_mul_f64 v[52:53], v[90:91], v[38:39]
	v_mul_f64 v[54:55], v[86:87], v[0:1]
	v_fma_f64 v[38:39], v[88:89], v[38:39], -v[68:69]
	v_fma_f64 v[28:29], v[92:93], v[28:29], v[60:61]
	v_fma_f64 v[30:31], v[92:93], v[30:31], -v[62:63]
	v_fma_f64 v[62:63], v[84:85], v[0:1], v[70:71]
	v_add_f64 v[24:25], v[24:25], v[16:17]
	v_add_f64 v[26:27], v[26:27], v[18:19]
	v_fma_f64 v[36:37], v[88:89], v[36:37], v[52:53]
	v_mul_f64 v[52:53], v[82:83], v[32:33]
	v_add_f64 v[60:61], v[42:43], -v[38:39]
	v_add_f64 v[42:43], v[42:43], v[38:39]
	v_fma_f64 v[54:55], v[84:85], v[2:3], -v[54:55]
	v_fma_f64 v[32:33], v[80:81], v[32:33], v[64:65]
	v_add_f64 v[0:1], v[24:25], v[28:29]
	v_add_f64 v[2:3], v[26:27], v[30:31]
	v_add_f64 v[26:27], v[40:41], -v[36:37]
	v_fma_f64 v[34:35], v[80:81], v[34:35], -v[52:53]
	v_add_f64 v[24:25], v[40:41], v[36:37]
	v_mul_f64 v[66:67], v[42:43], s[2:3]
	v_mul_f64 v[40:41], v[60:61], s[10:11]
	;; [unrolled: 1-line block ×3, first 2 shown]
	v_add_f64 v[0:1], v[0:1], v[62:63]
	v_add_f64 v[2:3], v[2:3], v[54:55]
	v_mul_f64 v[70:71], v[60:61], s[8:9]
	v_mul_f64 v[80:81], v[60:61], s[26:27]
	;; [unrolled: 1-line block ×3, first 2 shown]
	v_fma_f64 v[64:65], v[26:27], s[28:29], v[66:67]
	v_fma_f64 v[66:67], v[26:27], s[10:11], v[66:67]
	v_mul_f64 v[88:89], v[42:43], s[38:39]
	v_add_f64 v[0:1], v[0:1], v[32:33]
	v_add_f64 v[2:3], v[2:3], v[34:35]
	v_mul_f64 v[60:61], v[60:61], s[42:43]
	v_add_f64 v[96:97], v[46:47], v[34:35]
	v_add_f64 v[34:35], v[46:47], -v[34:35]
	v_fma_f64 v[52:53], v[24:25], s[2:3], v[40:41]
	v_fma_f64 v[40:41], v[24:25], s[2:3], -v[40:41]
	v_mul_f64 v[72:73], v[42:43], s[16:17]
	v_add_f64 v[0:1], v[0:1], v[36:37]
	v_add_f64 v[2:3], v[2:3], v[38:39]
	;; [unrolled: 1-line block ×3, first 2 shown]
	v_fma_f64 v[38:39], v[24:25], s[22:23], v[68:69]
	v_mul_f64 v[66:67], v[42:43], s[22:23]
	v_fma_f64 v[68:69], v[24:25], s[22:23], -v[68:69]
	v_fma_f64 v[76:77], v[24:25], s[16:17], v[70:71]
	v_fma_f64 v[70:71], v[24:25], s[16:17], -v[70:71]
	v_fma_f64 v[82:83], v[24:25], s[30:31], v[80:81]
	v_mul_f64 v[84:85], v[42:43], s[30:31]
	v_fma_f64 v[80:81], v[24:25], s[30:31], -v[80:81]
	v_fma_f64 v[92:93], v[24:25], s[38:39], v[86:87]
	v_fma_f64 v[94:95], v[26:27], s[40:41], v[88:89]
	v_fma_f64 v[86:87], v[24:25], s[38:39], -v[86:87]
	v_fma_f64 v[88:89], v[26:27], s[36:37], v[88:89]
	v_mul_f64 v[42:43], v[42:43], s[44:45]
	v_fma_f64 v[46:47], v[24:25], s[44:45], v[60:61]
	v_add_f64 v[98:99], v[44:45], v[32:33]
	v_add_f64 v[32:33], v[44:45], -v[32:33]
	v_mul_f64 v[44:45], v[34:35], s[20:21]
	v_mul_f64 v[100:101], v[96:97], s[22:23]
	v_fma_f64 v[24:25], v[24:25], s[44:45], -v[60:61]
	v_add_f64 v[52:53], v[20:21], v[52:53]
	v_add_f64 v[64:65], v[22:23], v[64:65]
	;; [unrolled: 1-line block ×3, first 2 shown]
	v_fma_f64 v[74:75], v[26:27], s[24:25], v[66:67]
	v_add_f64 v[38:39], v[20:21], v[38:39]
	v_fma_f64 v[66:67], v[26:27], s[20:21], v[66:67]
	v_fma_f64 v[78:79], v[26:27], s[18:19], v[72:73]
	v_add_f64 v[68:69], v[20:21], v[68:69]
	v_add_f64 v[76:77], v[20:21], v[76:77]
	v_fma_f64 v[72:73], v[26:27], s[8:9], v[72:73]
	v_fma_f64 v[90:91], v[26:27], s[34:35], v[84:85]
	;; [unrolled: 1-line block ×3, first 2 shown]
	v_add_f64 v[70:71], v[20:21], v[70:71]
	v_add_f64 v[82:83], v[20:21], v[82:83]
	;; [unrolled: 1-line block ×4, first 2 shown]
	v_fma_f64 v[102:103], v[26:27], s[46:47], v[42:43]
	v_fma_f64 v[26:27], v[26:27], s[42:43], v[42:43]
	v_add_f64 v[42:43], v[20:21], v[86:87]
	v_add_f64 v[60:61], v[22:23], v[88:89]
	v_fma_f64 v[86:87], v[98:99], s[22:23], v[44:45]
	v_fma_f64 v[88:89], v[32:33], s[24:25], v[100:101]
	v_add_f64 v[46:47], v[20:21], v[46:47]
	v_add_f64 v[20:21], v[20:21], v[24:25]
	v_mul_f64 v[24:25], v[34:35], s[26:27]
	v_add_f64 v[74:75], v[22:23], v[74:75]
	v_add_f64 v[66:67], v[22:23], v[66:67]
	v_add_f64 v[78:79], v[22:23], v[78:79]
	v_add_f64 v[72:73], v[22:23], v[72:73]
	v_add_f64 v[90:91], v[22:23], v[90:91]
	v_add_f64 v[84:85], v[22:23], v[84:85]
	v_add_f64 v[94:95], v[22:23], v[94:95]
	v_add_f64 v[102:103], v[22:23], v[102:103]
	v_add_f64 v[22:23], v[22:23], v[26:27]
	v_mul_f64 v[26:27], v[96:97], s[30:31]
	v_add_f64 v[52:53], v[86:87], v[52:53]
	v_add_f64 v[64:65], v[88:89], v[64:65]
	v_fma_f64 v[44:45], v[98:99], s[22:23], -v[44:45]
	v_fma_f64 v[86:87], v[32:33], s[20:21], v[100:101]
	v_mul_f64 v[88:89], v[34:35], s[42:43]
	v_mul_f64 v[100:101], v[96:97], s[44:45]
	v_fma_f64 v[104:105], v[98:99], s[30:31], v[24:25]
	v_fma_f64 v[24:25], v[98:99], s[30:31], -v[24:25]
	v_fma_f64 v[106:107], v[32:33], s[34:35], v[26:27]
	v_fma_f64 v[26:27], v[32:33], s[26:27], v[26:27]
	v_add_f64 v[40:41], v[44:45], v[40:41]
	v_add_f64 v[36:37], v[86:87], v[36:37]
	v_fma_f64 v[44:45], v[98:99], s[44:45], v[88:89]
	v_fma_f64 v[86:87], v[32:33], s[46:47], v[100:101]
	v_fma_f64 v[88:89], v[98:99], s[44:45], -v[88:89]
	v_add_f64 v[24:25], v[24:25], v[68:69]
	v_mul_f64 v[68:69], v[96:97], s[38:39]
	v_add_f64 v[74:75], v[106:107], v[74:75]
	v_add_f64 v[26:27], v[26:27], v[66:67]
	v_mul_f64 v[66:67], v[34:35], s[40:41]
	v_add_f64 v[44:45], v[44:45], v[76:77]
	v_add_f64 v[76:77], v[86:87], v[78:79]
	v_mul_f64 v[78:79], v[34:35], s[18:19]
	v_mul_f64 v[86:87], v[96:97], s[16:17]
	v_fma_f64 v[106:107], v[32:33], s[36:37], v[68:69]
	v_add_f64 v[38:39], v[104:105], v[38:39]
	v_fma_f64 v[68:69], v[32:33], s[40:41], v[68:69]
	v_fma_f64 v[104:105], v[98:99], s[38:39], v[66:67]
	v_fma_f64 v[66:67], v[98:99], s[38:39], -v[66:67]
	v_add_f64 v[70:71], v[88:89], v[70:71]
	v_fma_f64 v[108:109], v[98:99], s[16:17], v[78:79]
	v_fma_f64 v[110:111], v[32:33], s[8:9], v[86:87]
	v_add_f64 v[88:89], v[106:107], v[90:91]
	v_add_f64 v[90:91], v[50:51], -v[54:55]
	v_add_f64 v[50:51], v[50:51], v[54:55]
	v_fma_f64 v[100:101], v[32:33], s[42:43], v[100:101]
	v_add_f64 v[66:67], v[66:67], v[80:81]
	v_add_f64 v[68:69], v[68:69], v[84:85]
	;; [unrolled: 1-line block ×4, first 2 shown]
	v_mul_f64 v[54:55], v[96:97], s[2:3]
	v_fma_f64 v[78:79], v[98:99], s[16:17], -v[78:79]
	v_fma_f64 v[86:87], v[32:33], s[18:19], v[86:87]
	v_add_f64 v[92:93], v[48:49], v[62:63]
	v_add_f64 v[48:49], v[48:49], -v[62:63]
	v_mul_f64 v[62:63], v[90:91], s[8:9]
	v_mul_f64 v[94:95], v[50:51], s[16:17]
	v_add_f64 v[72:73], v[100:101], v[72:73]
	v_mul_f64 v[34:35], v[34:35], s[28:29]
	v_fma_f64 v[100:101], v[32:33], s[10:11], v[54:55]
	v_fma_f64 v[32:33], v[32:33], s[28:29], v[54:55]
	v_add_f64 v[42:43], v[78:79], v[42:43]
	v_add_f64 v[54:55], v[86:87], v[60:61]
	v_fma_f64 v[60:61], v[92:93], s[16:17], v[62:63]
	v_fma_f64 v[78:79], v[48:49], s[18:19], v[94:95]
	v_fma_f64 v[62:63], v[92:93], s[16:17], -v[62:63]
	v_fma_f64 v[96:97], v[98:99], s[2:3], v[34:35]
	v_fma_f64 v[34:35], v[98:99], s[2:3], -v[34:35]
	v_add_f64 v[22:23], v[32:33], v[22:23]
	v_mul_f64 v[32:33], v[90:91], s[42:43]
	v_add_f64 v[86:87], v[100:101], v[102:103]
	v_add_f64 v[52:53], v[60:61], v[52:53]
	;; [unrolled: 1-line block ×3, first 2 shown]
	v_fma_f64 v[64:65], v[48:49], s[8:9], v[94:95]
	v_mul_f64 v[78:79], v[90:91], s[34:35]
	v_mul_f64 v[94:95], v[50:51], s[30:31]
	v_add_f64 v[46:47], v[96:97], v[46:47]
	v_add_f64 v[20:21], v[34:35], v[20:21]
	v_mul_f64 v[34:35], v[50:51], s[44:45]
	v_fma_f64 v[96:97], v[92:93], s[44:45], v[32:33]
	v_fma_f64 v[32:33], v[92:93], s[44:45], -v[32:33]
	v_add_f64 v[40:41], v[62:63], v[40:41]
	v_add_f64 v[36:37], v[64:65], v[36:37]
	v_fma_f64 v[62:63], v[92:93], s[30:31], v[78:79]
	v_fma_f64 v[64:65], v[48:49], s[26:27], v[94:95]
	v_add_f64 v[82:83], v[104:105], v[82:83]
	v_fma_f64 v[98:99], v[48:49], s[46:47], v[34:35]
	v_fma_f64 v[34:35], v[48:49], s[42:43], v[34:35]
	v_add_f64 v[24:25], v[32:33], v[24:25]
	v_mul_f64 v[32:33], v[90:91], s[28:29]
	v_add_f64 v[38:39], v[96:97], v[38:39]
	v_add_f64 v[44:45], v[62:63], v[44:45]
	;; [unrolled: 1-line block ×3, first 2 shown]
	v_mul_f64 v[64:65], v[90:91], s[20:21]
	v_mul_f64 v[76:77], v[50:51], s[22:23]
	v_add_f64 v[26:27], v[34:35], v[26:27]
	v_mul_f64 v[34:35], v[50:51], s[2:3]
	v_fma_f64 v[96:97], v[92:93], s[2:3], v[32:33]
	v_fma_f64 v[32:33], v[92:93], s[2:3], -v[32:33]
	v_add_f64 v[74:75], v[98:99], v[74:75]
	v_fma_f64 v[78:79], v[92:93], s[30:31], -v[78:79]
	v_fma_f64 v[100:101], v[92:93], s[22:23], v[64:65]
	v_fma_f64 v[102:103], v[48:49], s[24:25], v[76:77]
	;; [unrolled: 1-line block ×5, first 2 shown]
	v_add_f64 v[32:33], v[32:33], v[66:67]
	v_mul_f64 v[50:51], v[50:51], s[38:39]
	v_add_f64 v[70:71], v[78:79], v[70:71]
	v_add_f64 v[66:67], v[100:101], v[80:81]
	v_add_f64 v[80:81], v[58:59], -v[30:31]
	v_add_f64 v[30:31], v[58:59], v[30:31]
	v_add_f64 v[78:79], v[96:97], v[82:83]
	;; [unrolled: 1-line block ×5, first 2 shown]
	v_mul_f64 v[58:59], v[90:91], s[36:37]
	v_fma_f64 v[64:65], v[92:93], s[22:23], -v[64:65]
	v_fma_f64 v[76:77], v[48:49], s[20:21], v[76:77]
	v_add_f64 v[84:85], v[56:57], v[28:29]
	v_add_f64 v[28:29], v[56:57], -v[28:29]
	v_mul_f64 v[56:57], v[80:81], s[26:27]
	v_mul_f64 v[88:89], v[30:31], s[30:31]
	v_add_f64 v[72:73], v[94:95], v[72:73]
	v_fma_f64 v[90:91], v[92:93], s[38:39], v[58:59]
	v_fma_f64 v[94:95], v[48:49], s[40:41], v[50:51]
	v_fma_f64 v[58:59], v[92:93], s[38:39], -v[58:59]
	v_fma_f64 v[48:49], v[48:49], s[36:37], v[50:51]
	v_add_f64 v[42:43], v[64:65], v[42:43]
	v_add_f64 v[50:51], v[76:77], v[54:55]
	v_fma_f64 v[54:55], v[84:85], s[30:31], v[56:57]
	v_fma_f64 v[64:65], v[28:29], s[34:35], v[88:89]
	v_fma_f64 v[56:57], v[84:85], s[30:31], -v[56:57]
	v_add_f64 v[76:77], v[94:95], v[86:87]
	v_add_f64 v[20:21], v[58:59], v[20:21]
	v_mul_f64 v[58:59], v[30:31], s[38:39]
	v_mul_f64 v[86:87], v[30:31], s[2:3]
	v_add_f64 v[46:47], v[90:91], v[46:47]
	v_add_f64 v[52:53], v[54:55], v[52:53]
	v_add_f64 v[54:55], v[64:65], v[60:61]
	v_fma_f64 v[60:61], v[28:29], s[26:27], v[88:89]
	v_mul_f64 v[64:65], v[80:81], s[28:29]
	v_add_f64 v[22:23], v[48:49], v[22:23]
	v_mul_f64 v[48:49], v[80:81], s[40:41]
	v_fma_f64 v[90:91], v[28:29], s[36:37], v[58:59]
	v_fma_f64 v[58:59], v[28:29], s[40:41], v[58:59]
	v_add_f64 v[40:41], v[56:57], v[40:41]
	v_add_f64 v[36:37], v[60:61], v[36:37]
	v_fma_f64 v[56:57], v[84:85], s[2:3], v[64:65]
	v_fma_f64 v[60:61], v[28:29], s[10:11], v[86:87]
	;; [unrolled: 1-line block ×3, first 2 shown]
	v_fma_f64 v[48:49], v[84:85], s[38:39], -v[48:49]
	v_add_f64 v[26:27], v[58:59], v[26:27]
	v_mul_f64 v[58:59], v[30:31], s[16:17]
	v_add_f64 v[74:75], v[90:91], v[74:75]
	v_add_f64 v[44:45], v[56:57], v[44:45]
	;; [unrolled: 1-line block ×3, first 2 shown]
	v_fma_f64 v[60:61], v[84:85], s[2:3], -v[64:65]
	v_fma_f64 v[62:63], v[28:29], s[28:29], v[86:87]
	v_mul_f64 v[64:65], v[80:81], s[46:47]
	v_mul_f64 v[86:87], v[30:31], s[44:45]
	v_add_f64 v[24:25], v[48:49], v[24:25]
	v_mul_f64 v[48:49], v[80:81], s[8:9]
	v_fma_f64 v[90:91], v[28:29], s[18:19], v[58:59]
	v_fma_f64 v[58:59], v[28:29], s[8:9], v[58:59]
	v_add_f64 v[60:61], v[60:61], v[70:71]
	v_add_f64 v[62:63], v[62:63], v[72:73]
	v_fma_f64 v[70:71], v[84:85], s[44:45], v[64:65]
	v_fma_f64 v[72:73], v[28:29], s[42:43], v[86:87]
	v_add_f64 v[38:39], v[88:89], v[38:39]
	v_fma_f64 v[88:89], v[84:85], s[16:17], v[48:49]
	v_fma_f64 v[48:49], v[84:85], s[16:17], -v[48:49]
	v_add_f64 v[34:35], v[58:59], v[34:35]
	v_mul_f64 v[30:31], v[30:31], s[22:23]
	v_add_f64 v[82:83], v[90:91], v[82:83]
	v_add_f64 v[58:59], v[70:71], v[66:67]
	;; [unrolled: 1-line block ×3, first 2 shown]
	v_add_f64 v[68:69], v[14:15], -v[18:19]
	v_add_f64 v[14:15], v[14:15], v[18:19]
	v_add_f64 v[32:33], v[48:49], v[32:33]
	v_mul_f64 v[48:49], v[80:81], s[24:25]
	v_fma_f64 v[18:19], v[84:85], s[44:45], -v[64:65]
	v_fma_f64 v[64:65], v[28:29], s[46:47], v[86:87]
	v_add_f64 v[80:81], v[12:13], v[16:17]
	v_add_f64 v[12:13], v[12:13], -v[16:17]
	v_mul_f64 v[16:17], v[68:69], s[36:37]
	v_mul_f64 v[86:87], v[14:15], s[38:39]
	v_fma_f64 v[72:73], v[28:29], s[20:21], v[30:31]
	v_fma_f64 v[70:71], v[84:85], s[22:23], v[48:49]
	v_fma_f64 v[48:49], v[84:85], s[22:23], -v[48:49]
	v_fma_f64 v[28:29], v[28:29], s[24:25], v[30:31]
	v_add_f64 v[30:31], v[64:65], v[50:51]
	v_add_f64 v[18:19], v[18:19], v[42:43]
	v_fma_f64 v[50:51], v[80:81], s[38:39], v[16:17]
	v_fma_f64 v[64:65], v[12:13], s[40:41], v[86:87]
	v_fma_f64 v[16:17], v[80:81], s[38:39], -v[16:17]
	v_add_f64 v[42:43], v[70:71], v[46:47]
	v_add_f64 v[20:21], v[48:49], v[20:21]
	v_add_f64 v[22:23], v[28:29], v[22:23]
	v_mul_f64 v[28:29], v[68:69], s[18:19]
	v_mul_f64 v[48:49], v[14:15], s[16:17]
	v_fma_f64 v[70:71], v[12:13], s[36:37], v[86:87]
	v_add_f64 v[50:51], v[50:51], v[52:53]
	v_add_f64 v[52:53], v[64:65], v[54:55]
	v_mul_f64 v[54:55], v[68:69], s[20:21]
	v_mul_f64 v[64:65], v[14:15], s[22:23]
	v_add_f64 v[46:47], v[72:73], v[76:77]
	v_fma_f64 v[72:73], v[80:81], s[16:17], v[28:29]
	v_fma_f64 v[76:77], v[12:13], s[8:9], v[48:49]
	v_add_f64 v[16:17], v[16:17], v[40:41]
	v_add_f64 v[36:37], v[70:71], v[36:37]
	v_fma_f64 v[28:29], v[80:81], s[16:17], -v[28:29]
	v_fma_f64 v[40:41], v[12:13], s[18:19], v[48:49]
	v_fma_f64 v[48:49], v[80:81], s[22:23], v[54:55]
	;; [unrolled: 1-line block ×3, first 2 shown]
	v_add_f64 v[38:39], v[72:73], v[38:39]
	v_add_f64 v[72:73], v[76:77], v[74:75]
	v_mul_f64 v[74:75], v[68:69], s[46:47]
	v_mul_f64 v[76:77], v[14:15], s[44:45]
	v_add_f64 v[24:25], v[28:29], v[24:25]
	v_add_f64 v[26:27], v[40:41], v[26:27]
	;; [unrolled: 1-line block ×4, first 2 shown]
	v_fma_f64 v[44:45], v[80:81], s[22:23], -v[54:55]
	v_fma_f64 v[48:49], v[12:13], s[20:21], v[64:65]
	v_mul_f64 v[64:65], v[68:69], s[28:29]
	v_mul_f64 v[70:71], v[14:15], s[2:3]
	v_fma_f64 v[54:55], v[80:81], s[44:45], v[74:75]
	v_fma_f64 v[56:57], v[12:13], s[42:43], v[76:77]
	v_fma_f64 v[74:75], v[80:81], s[44:45], -v[74:75]
	v_fma_f64 v[76:77], v[12:13], s[46:47], v[76:77]
	v_add_f64 v[44:45], v[44:45], v[60:61]
	v_add_f64 v[48:49], v[48:49], v[62:63]
	v_fma_f64 v[60:61], v[80:81], s[2:3], v[64:65]
	v_fma_f64 v[62:63], v[12:13], s[10:11], v[70:71]
	v_mul_f64 v[68:69], v[68:69], s[26:27]
	v_fma_f64 v[64:65], v[80:81], s[2:3], -v[64:65]
	v_add_f64 v[32:33], v[74:75], v[32:33]
	v_add_f64 v[34:35], v[76:77], v[34:35]
	v_fma_f64 v[70:71], v[12:13], s[28:29], v[70:71]
	v_mul_f64 v[14:15], v[14:15], s[30:31]
	v_add_f64 v[58:59], v[60:61], v[58:59]
	v_add_f64 v[60:61], v[62:63], v[66:67]
	v_add_f64 v[62:63], v[6:7], -v[10:11]
	v_add_f64 v[66:67], v[6:7], v[10:11]
	v_fma_f64 v[6:7], v[80:81], s[30:31], v[68:69]
	v_add_f64 v[74:75], v[4:5], v[8:9]
	v_add_f64 v[76:77], v[4:5], -v[8:9]
	v_add_f64 v[78:79], v[88:89], v[78:79]
	v_add_f64 v[64:65], v[64:65], v[18:19]
	;; [unrolled: 1-line block ×3, first 2 shown]
	v_mul_f64 v[4:5], v[62:63], s[42:43]
	v_fma_f64 v[10:11], v[12:13], s[34:35], v[14:15]
	v_mul_f64 v[8:9], v[66:67], s[44:45]
	v_fma_f64 v[18:19], v[80:81], s[30:31], -v[68:69]
	v_fma_f64 v[12:13], v[12:13], s[26:27], v[14:15]
	v_add_f64 v[68:69], v[6:7], v[42:43]
	v_mul_f64 v[30:31], v[62:63], s[28:29]
	v_mul_f64 v[42:43], v[66:67], s[2:3]
	v_fma_f64 v[6:7], v[74:75], s[44:45], v[4:5]
	v_add_f64 v[54:55], v[54:55], v[78:79]
	v_add_f64 v[46:47], v[10:11], v[46:47]
	v_fma_f64 v[10:11], v[76:77], s[46:47], v[8:9]
	v_add_f64 v[78:79], v[18:19], v[20:21]
	v_add_f64 v[80:81], v[12:13], v[22:23]
	v_fma_f64 v[12:13], v[74:75], s[44:45], -v[4:5]
	v_fma_f64 v[14:15], v[76:77], s[42:43], v[8:9]
	v_fma_f64 v[18:19], v[74:75], s[2:3], v[30:31]
	;; [unrolled: 1-line block ×3, first 2 shown]
	v_add_f64 v[4:5], v[6:7], v[50:51]
	v_mul_f64 v[22:23], v[62:63], s[36:37]
	v_mul_f64 v[50:51], v[66:67], s[38:39]
	v_add_f64 v[6:7], v[10:11], v[52:53]
	v_add_f64 v[8:9], v[12:13], v[16:17]
	;; [unrolled: 1-line block ×5, first 2 shown]
	v_fma_f64 v[16:17], v[74:75], s[2:3], -v[30:31]
	v_fma_f64 v[18:19], v[76:77], s[28:29], v[42:43]
	v_fma_f64 v[20:21], v[74:75], s[38:39], v[22:23]
	;; [unrolled: 1-line block ×3, first 2 shown]
	v_mul_f64 v[36:37], v[62:63], s[24:25]
	v_mul_f64 v[38:39], v[66:67], s[22:23]
	v_fma_f64 v[42:43], v[74:75], s[38:39], -v[22:23]
	v_fma_f64 v[50:51], v[76:77], s[36:37], v[50:51]
	v_add_f64 v[16:17], v[16:17], v[24:25]
	v_add_f64 v[18:19], v[18:19], v[26:27]
	;; [unrolled: 1-line block ×4, first 2 shown]
	v_fma_f64 v[28:29], v[74:75], s[22:23], v[36:37]
	v_fma_f64 v[30:31], v[76:77], s[20:21], v[38:39]
	v_add_f64 v[24:25], v[42:43], v[44:45]
	v_fma_f64 v[36:37], v[74:75], s[22:23], -v[36:37]
	v_fma_f64 v[38:39], v[76:77], s[24:25], v[38:39]
	v_mul_f64 v[40:41], v[62:63], s[26:27]
	v_mul_f64 v[42:43], v[66:67], s[30:31]
	v_add_f64 v[26:27], v[50:51], v[48:49]
	v_mul_f64 v[44:45], v[62:63], s[18:19]
	v_mul_f64 v[48:49], v[66:67], s[16:17]
	v_add_f64 v[56:57], v[56:57], v[82:83]
	v_add_f64 v[32:33], v[36:37], v[32:33]
	;; [unrolled: 1-line block ×3, first 2 shown]
	v_fma_f64 v[36:37], v[74:75], s[30:31], v[40:41]
	v_fma_f64 v[38:39], v[76:77], s[34:35], v[42:43]
	v_add_f64 v[28:29], v[28:29], v[54:55]
	v_fma_f64 v[50:51], v[74:75], s[16:17], v[44:45]
	v_fma_f64 v[52:53], v[76:77], s[8:9], v[48:49]
	v_add_f64 v[30:31], v[30:31], v[56:57]
	v_fma_f64 v[54:55], v[74:75], s[16:17], -v[44:45]
	v_fma_f64 v[56:57], v[76:77], s[18:19], v[48:49]
	v_fma_f64 v[40:41], v[74:75], s[30:31], -v[40:41]
	v_fma_f64 v[42:43], v[76:77], s[26:27], v[42:43]
	v_add_f64 v[36:37], v[36:37], v[58:59]
	v_add_f64 v[38:39], v[38:39], v[60:61]
	;; [unrolled: 1-line block ×8, first 2 shown]
	ds_write_b128 v255, v[0:3]
	ds_write_b128 v255, v[4:7] offset:1904
	ds_write_b128 v255, v[12:15] offset:3808
	;; [unrolled: 1-line block ×12, first 2 shown]
	s_waitcnt lgkmcnt(0)
	s_barrier
	s_and_b64 exec, exec, s[0:1]
	s_cbranch_execz .LBB0_23
; %bb.22:
	global_load_dwordx4 v[0:3], v255, s[12:13]
	buffer_load_dword v22, off, s[64:67], 0 offset:20 ; 4-byte Folded Reload
	buffer_load_dword v23, off, s[64:67], 0 offset:24 ; 4-byte Folded Reload
	ds_read_b128 v[4:7], v255
	v_mad_u64_u32 v[14:15], s[0:1], s4, v192, 0
	ds_read_b128 v[8:11], v255 offset:1456
	ds_read_b128 v[16:19], v255 offset:23296
	s_mul_i32 s3, s5, 0x5b0
	s_mul_i32 s2, s4, 0x5b0
	s_waitcnt vmcnt(2) lgkmcnt(2)
	v_mul_f64 v[20:21], v[6:7], v[2:3]
	v_mul_f64 v[2:3], v[4:5], v[2:3]
	s_waitcnt vmcnt(1)
	v_mad_u64_u32 v[12:13], s[0:1], s6, v22, 0
	s_waitcnt vmcnt(0)
	v_mad_u64_u32 v[22:23], s[0:1], s7, v22, v[13:14]
	v_fma_f64 v[4:5], v[4:5], v[0:1], v[20:21]
	v_fma_f64 v[2:3], v[0:1], v[6:7], -v[2:3]
	s_waitcnt lgkmcnt(0)
	v_mad_u64_u32 v[23:24], s[0:1], s5, v192, v[15:16]
	s_mov_b32 s0, 0x152e8015
	s_mov_b32 s1, 0x3f452e80
	v_mov_b32_e32 v13, v22
	v_lshlrev_b64 v[6:7], 4, v[12:13]
	v_mul_f64 v[0:1], v[4:5], s[0:1]
	v_mul_f64 v[2:3], v[2:3], s[0:1]
	v_mov_b32_e32 v15, v23
	v_mov_b32_e32 v20, s15
	v_lshlrev_b64 v[12:13], 4, v[14:15]
	v_add_co_u32_e32 v4, vcc, s14, v6
	v_addc_co_u32_e32 v5, vcc, v20, v7, vcc
	v_add_co_u32_e32 v4, vcc, v4, v12
	v_addc_co_u32_e32 v5, vcc, v5, v13, vcc
	global_store_dwordx4 v[4:5], v[0:3], off
	global_load_dwordx4 v[0:3], v255, s[12:13] offset:1456
	s_mul_hi_u32 s5, s4, 0x5b0
	s_add_i32 s3, s5, s3
	v_add_co_u32_e32 v12, vcc, s2, v4
	v_mov_b32_e32 v20, s13
	s_movk_i32 s4, 0x1000
	s_waitcnt vmcnt(0)
	v_mul_f64 v[6:7], v[10:11], v[2:3]
	v_mul_f64 v[2:3], v[8:9], v[2:3]
	v_fma_f64 v[6:7], v[8:9], v[0:1], v[6:7]
	v_fma_f64 v[2:3], v[0:1], v[10:11], -v[2:3]
	v_mul_f64 v[0:1], v[6:7], s[0:1]
	v_mul_f64 v[2:3], v[2:3], s[0:1]
	v_mov_b32_e32 v6, s3
	v_addc_co_u32_e32 v13, vcc, v5, v6, vcc
	v_add_co_u32_e32 v22, vcc, s12, v255
	v_addc_co_u32_e32 v23, vcc, 0, v20, vcc
	global_store_dwordx4 v[12:13], v[0:3], off
	global_load_dwordx4 v[0:3], v255, s[12:13] offset:2912
	ds_read_b128 v[4:7], v255 offset:2912
	ds_read_b128 v[8:11], v255 offset:4368
	s_waitcnt vmcnt(0) lgkmcnt(1)
	v_mul_f64 v[14:15], v[6:7], v[2:3]
	v_mul_f64 v[2:3], v[4:5], v[2:3]
	v_fma_f64 v[4:5], v[4:5], v[0:1], v[14:15]
	v_fma_f64 v[2:3], v[0:1], v[6:7], -v[2:3]
	v_add_co_u32_e32 v14, vcc, s4, v22
	v_addc_co_u32_e32 v15, vcc, 0, v23, vcc
	v_mov_b32_e32 v6, s3
	s_movk_i32 s4, 0x2000
	v_mul_f64 v[0:1], v[4:5], s[0:1]
	v_mul_f64 v[2:3], v[2:3], s[0:1]
	v_add_co_u32_e32 v4, vcc, s2, v12
	v_addc_co_u32_e32 v5, vcc, v13, v6, vcc
	v_add_co_u32_e32 v12, vcc, s2, v4
	global_store_dwordx4 v[4:5], v[0:3], off
	global_load_dwordx4 v[0:3], v[14:15], off offset:272
	s_waitcnt vmcnt(0) lgkmcnt(0)
	v_mul_f64 v[6:7], v[10:11], v[2:3]
	v_mul_f64 v[2:3], v[8:9], v[2:3]
	v_fma_f64 v[6:7], v[8:9], v[0:1], v[6:7]
	v_fma_f64 v[2:3], v[0:1], v[10:11], -v[2:3]
	v_mul_f64 v[0:1], v[6:7], s[0:1]
	v_mul_f64 v[2:3], v[2:3], s[0:1]
	v_mov_b32_e32 v6, s3
	v_addc_co_u32_e32 v13, vcc, v5, v6, vcc
	global_store_dwordx4 v[12:13], v[0:3], off
	global_load_dwordx4 v[0:3], v[14:15], off offset:1728
	ds_read_b128 v[4:7], v255 offset:5824
	ds_read_b128 v[8:11], v255 offset:7280
	s_waitcnt vmcnt(0) lgkmcnt(1)
	v_mul_f64 v[20:21], v[6:7], v[2:3]
	v_mul_f64 v[2:3], v[4:5], v[2:3]
	v_fma_f64 v[4:5], v[4:5], v[0:1], v[20:21]
	v_fma_f64 v[2:3], v[0:1], v[6:7], -v[2:3]
	v_mul_f64 v[0:1], v[4:5], s[0:1]
	v_mul_f64 v[2:3], v[2:3], s[0:1]
	v_mov_b32_e32 v5, s3
	v_add_co_u32_e32 v4, vcc, s2, v12
	v_addc_co_u32_e32 v5, vcc, v13, v5, vcc
	v_add_co_u32_e32 v12, vcc, s4, v22
	global_store_dwordx4 v[4:5], v[0:3], off
	global_load_dwordx4 v[0:3], v[14:15], off offset:3184
	v_addc_co_u32_e32 v13, vcc, 0, v23, vcc
	v_add_co_u32_e32 v14, vcc, s2, v4
	s_movk_i32 s4, 0x3000
	s_waitcnt vmcnt(0) lgkmcnt(0)
	v_mul_f64 v[6:7], v[10:11], v[2:3]
	v_mul_f64 v[2:3], v[8:9], v[2:3]
	v_fma_f64 v[6:7], v[8:9], v[0:1], v[6:7]
	v_fma_f64 v[2:3], v[0:1], v[10:11], -v[2:3]
	v_mov_b32_e32 v8, s3
	v_addc_co_u32_e32 v15, vcc, v5, v8, vcc
	v_mul_f64 v[0:1], v[6:7], s[0:1]
	v_mul_f64 v[2:3], v[2:3], s[0:1]
	global_store_dwordx4 v[14:15], v[0:3], off
	global_load_dwordx4 v[0:3], v[12:13], off offset:544
	ds_read_b128 v[4:7], v255 offset:8736
	ds_read_b128 v[8:11], v255 offset:10192
	s_waitcnt vmcnt(0) lgkmcnt(1)
	v_mul_f64 v[20:21], v[6:7], v[2:3]
	v_mul_f64 v[2:3], v[4:5], v[2:3]
	v_fma_f64 v[4:5], v[4:5], v[0:1], v[20:21]
	v_fma_f64 v[2:3], v[0:1], v[6:7], -v[2:3]
	v_mul_f64 v[0:1], v[4:5], s[0:1]
	v_mul_f64 v[2:3], v[2:3], s[0:1]
	v_mov_b32_e32 v5, s3
	v_add_co_u32_e32 v4, vcc, s2, v14
	v_addc_co_u32_e32 v5, vcc, v15, v5, vcc
	v_add_co_u32_e32 v14, vcc, s2, v4
	global_store_dwordx4 v[4:5], v[0:3], off
	global_load_dwordx4 v[0:3], v[12:13], off offset:2000
	s_waitcnt vmcnt(0) lgkmcnt(0)
	v_mul_f64 v[6:7], v[10:11], v[2:3]
	v_mul_f64 v[2:3], v[8:9], v[2:3]
	v_fma_f64 v[6:7], v[8:9], v[0:1], v[6:7]
	v_fma_f64 v[2:3], v[0:1], v[10:11], -v[2:3]
	v_mul_f64 v[0:1], v[6:7], s[0:1]
	v_mul_f64 v[2:3], v[2:3], s[0:1]
	v_mov_b32_e32 v6, s3
	v_addc_co_u32_e32 v15, vcc, v5, v6, vcc
	global_store_dwordx4 v[14:15], v[0:3], off
	global_load_dwordx4 v[0:3], v[12:13], off offset:3456
	ds_read_b128 v[4:7], v255 offset:11648
	ds_read_b128 v[8:11], v255 offset:13104
	s_waitcnt vmcnt(0) lgkmcnt(1)
	v_mul_f64 v[12:13], v[6:7], v[2:3]
	v_mul_f64 v[2:3], v[4:5], v[2:3]
	v_fma_f64 v[4:5], v[4:5], v[0:1], v[12:13]
	v_fma_f64 v[2:3], v[0:1], v[6:7], -v[2:3]
	v_add_co_u32_e32 v12, vcc, s4, v22
	v_addc_co_u32_e32 v13, vcc, 0, v23, vcc
	v_mov_b32_e32 v6, s3
	s_movk_i32 s4, 0x4000
	v_mul_f64 v[0:1], v[4:5], s[0:1]
	v_mul_f64 v[2:3], v[2:3], s[0:1]
	v_add_co_u32_e32 v4, vcc, s2, v14
	v_addc_co_u32_e32 v5, vcc, v15, v6, vcc
	v_add_co_u32_e32 v14, vcc, s2, v4
	global_store_dwordx4 v[4:5], v[0:3], off
	global_load_dwordx4 v[0:3], v[12:13], off offset:816
	s_waitcnt vmcnt(0) lgkmcnt(0)
	v_mul_f64 v[6:7], v[10:11], v[2:3]
	v_mul_f64 v[2:3], v[8:9], v[2:3]
	v_fma_f64 v[6:7], v[8:9], v[0:1], v[6:7]
	v_fma_f64 v[2:3], v[0:1], v[10:11], -v[2:3]
	v_mul_f64 v[0:1], v[6:7], s[0:1]
	v_mul_f64 v[2:3], v[2:3], s[0:1]
	v_mov_b32_e32 v6, s3
	v_addc_co_u32_e32 v15, vcc, v5, v6, vcc
	global_store_dwordx4 v[14:15], v[0:3], off
	global_load_dwordx4 v[0:3], v[12:13], off offset:2272
	ds_read_b128 v[4:7], v255 offset:14560
	ds_read_b128 v[8:11], v255 offset:16016
	s_waitcnt vmcnt(0) lgkmcnt(1)
	v_mul_f64 v[20:21], v[6:7], v[2:3]
	v_mul_f64 v[2:3], v[4:5], v[2:3]
	v_fma_f64 v[4:5], v[4:5], v[0:1], v[20:21]
	v_fma_f64 v[2:3], v[0:1], v[6:7], -v[2:3]
	v_mul_f64 v[0:1], v[4:5], s[0:1]
	v_mul_f64 v[2:3], v[2:3], s[0:1]
	v_mov_b32_e32 v5, s3
	v_add_co_u32_e32 v4, vcc, s2, v14
	v_addc_co_u32_e32 v5, vcc, v15, v5, vcc
	global_store_dwordx4 v[4:5], v[0:3], off
	global_load_dwordx4 v[0:3], v[12:13], off offset:3728
	v_add_co_u32_e32 v12, vcc, s4, v22
	v_addc_co_u32_e32 v13, vcc, 0, v23, vcc
	v_add_co_u32_e32 v14, vcc, s2, v4
	s_movk_i32 s4, 0x5000
	s_waitcnt vmcnt(0) lgkmcnt(0)
	v_mul_f64 v[6:7], v[10:11], v[2:3]
	v_mul_f64 v[2:3], v[8:9], v[2:3]
	v_fma_f64 v[6:7], v[8:9], v[0:1], v[6:7]
	v_fma_f64 v[2:3], v[0:1], v[10:11], -v[2:3]
	v_mov_b32_e32 v8, s3
	v_addc_co_u32_e32 v15, vcc, v5, v8, vcc
	v_mul_f64 v[0:1], v[6:7], s[0:1]
	v_mul_f64 v[2:3], v[2:3], s[0:1]
	global_store_dwordx4 v[14:15], v[0:3], off
	global_load_dwordx4 v[0:3], v[12:13], off offset:1088
	ds_read_b128 v[4:7], v255 offset:17472
	ds_read_b128 v[8:11], v255 offset:18928
	s_waitcnt vmcnt(0) lgkmcnt(1)
	v_mul_f64 v[20:21], v[6:7], v[2:3]
	v_mul_f64 v[2:3], v[4:5], v[2:3]
	v_fma_f64 v[4:5], v[4:5], v[0:1], v[20:21]
	v_fma_f64 v[2:3], v[0:1], v[6:7], -v[2:3]
	v_mul_f64 v[0:1], v[4:5], s[0:1]
	v_mul_f64 v[2:3], v[2:3], s[0:1]
	v_mov_b32_e32 v5, s3
	v_add_co_u32_e32 v4, vcc, s2, v14
	v_addc_co_u32_e32 v5, vcc, v15, v5, vcc
	v_add_co_u32_e32 v14, vcc, s2, v4
	global_store_dwordx4 v[4:5], v[0:3], off
	global_load_dwordx4 v[0:3], v[12:13], off offset:2544
	s_waitcnt vmcnt(0) lgkmcnt(0)
	v_mul_f64 v[6:7], v[10:11], v[2:3]
	v_mul_f64 v[2:3], v[8:9], v[2:3]
	v_fma_f64 v[6:7], v[8:9], v[0:1], v[6:7]
	v_fma_f64 v[2:3], v[0:1], v[10:11], -v[2:3]
	v_mul_f64 v[0:1], v[6:7], s[0:1]
	v_mul_f64 v[2:3], v[2:3], s[0:1]
	v_mov_b32_e32 v6, s3
	v_addc_co_u32_e32 v15, vcc, v5, v6, vcc
	global_store_dwordx4 v[14:15], v[0:3], off
	global_load_dwordx4 v[0:3], v[12:13], off offset:4000
	ds_read_b128 v[4:7], v255 offset:20384
	ds_read_b128 v[8:11], v255 offset:21840
	s_waitcnt vmcnt(0) lgkmcnt(1)
	v_mul_f64 v[12:13], v[6:7], v[2:3]
	v_mul_f64 v[2:3], v[4:5], v[2:3]
	v_fma_f64 v[4:5], v[4:5], v[0:1], v[12:13]
	v_fma_f64 v[2:3], v[0:1], v[6:7], -v[2:3]
	v_mov_b32_e32 v7, s3
	v_mul_f64 v[0:1], v[4:5], s[0:1]
	v_mul_f64 v[2:3], v[2:3], s[0:1]
	v_add_co_u32_e32 v4, vcc, s4, v22
	v_addc_co_u32_e32 v5, vcc, 0, v23, vcc
	v_add_co_u32_e32 v6, vcc, s2, v14
	v_addc_co_u32_e32 v7, vcc, v15, v7, vcc
	global_store_dwordx4 v[6:7], v[0:3], off
	global_load_dwordx4 v[0:3], v[4:5], off offset:1360
	v_add_co_u32_e32 v6, vcc, s2, v6
	s_waitcnt vmcnt(0) lgkmcnt(0)
	v_mul_f64 v[12:13], v[10:11], v[2:3]
	v_mul_f64 v[2:3], v[8:9], v[2:3]
	v_fma_f64 v[8:9], v[8:9], v[0:1], v[12:13]
	v_fma_f64 v[2:3], v[0:1], v[10:11], -v[2:3]
	v_mul_f64 v[0:1], v[8:9], s[0:1]
	v_mul_f64 v[2:3], v[2:3], s[0:1]
	v_mov_b32_e32 v8, s3
	v_addc_co_u32_e32 v7, vcc, v7, v8, vcc
	global_store_dwordx4 v[6:7], v[0:3], off
	global_load_dwordx4 v[0:3], v[4:5], off offset:2816
	s_waitcnt vmcnt(0)
	v_mul_f64 v[4:5], v[18:19], v[2:3]
	v_mul_f64 v[2:3], v[16:17], v[2:3]
	v_fma_f64 v[4:5], v[16:17], v[0:1], v[4:5]
	v_fma_f64 v[2:3], v[0:1], v[18:19], -v[2:3]
	v_mul_f64 v[0:1], v[4:5], s[0:1]
	v_mul_f64 v[2:3], v[2:3], s[0:1]
	v_mov_b32_e32 v5, s3
	v_add_co_u32_e32 v4, vcc, s2, v6
	v_addc_co_u32_e32 v5, vcc, v7, v5, vcc
	global_store_dwordx4 v[4:5], v[0:3], off
.LBB0_23:
	s_endpgm
	.section	.rodata,"a",@progbits
	.p2align	6, 0x0
	.amdhsa_kernel bluestein_single_back_len1547_dim1_dp_op_CI_CI
		.amdhsa_group_segment_fixed_size 24752
		.amdhsa_private_segment_fixed_size 548
		.amdhsa_kernarg_size 104
		.amdhsa_user_sgpr_count 6
		.amdhsa_user_sgpr_private_segment_buffer 1
		.amdhsa_user_sgpr_dispatch_ptr 0
		.amdhsa_user_sgpr_queue_ptr 0
		.amdhsa_user_sgpr_kernarg_segment_ptr 1
		.amdhsa_user_sgpr_dispatch_id 0
		.amdhsa_user_sgpr_flat_scratch_init 0
		.amdhsa_user_sgpr_private_segment_size 0
		.amdhsa_uses_dynamic_stack 0
		.amdhsa_system_sgpr_private_segment_wavefront_offset 1
		.amdhsa_system_sgpr_workgroup_id_x 1
		.amdhsa_system_sgpr_workgroup_id_y 0
		.amdhsa_system_sgpr_workgroup_id_z 0
		.amdhsa_system_sgpr_workgroup_info 0
		.amdhsa_system_vgpr_workitem_id 0
		.amdhsa_next_free_vgpr 256
		.amdhsa_next_free_sgpr 68
		.amdhsa_reserve_vcc 1
		.amdhsa_reserve_flat_scratch 0
		.amdhsa_float_round_mode_32 0
		.amdhsa_float_round_mode_16_64 0
		.amdhsa_float_denorm_mode_32 3
		.amdhsa_float_denorm_mode_16_64 3
		.amdhsa_dx10_clamp 1
		.amdhsa_ieee_mode 1
		.amdhsa_fp16_overflow 0
		.amdhsa_exception_fp_ieee_invalid_op 0
		.amdhsa_exception_fp_denorm_src 0
		.amdhsa_exception_fp_ieee_div_zero 0
		.amdhsa_exception_fp_ieee_overflow 0
		.amdhsa_exception_fp_ieee_underflow 0
		.amdhsa_exception_fp_ieee_inexact 0
		.amdhsa_exception_int_div_zero 0
	.end_amdhsa_kernel
	.text
.Lfunc_end0:
	.size	bluestein_single_back_len1547_dim1_dp_op_CI_CI, .Lfunc_end0-bluestein_single_back_len1547_dim1_dp_op_CI_CI
                                        ; -- End function
	.section	.AMDGPU.csdata,"",@progbits
; Kernel info:
; codeLenInByte = 36204
; NumSgprs: 72
; NumVgprs: 256
; ScratchSize: 548
; MemoryBound: 0
; FloatMode: 240
; IeeeMode: 1
; LDSByteSize: 24752 bytes/workgroup (compile time only)
; SGPRBlocks: 8
; VGPRBlocks: 63
; NumSGPRsForWavesPerEU: 72
; NumVGPRsForWavesPerEU: 256
; Occupancy: 1
; WaveLimiterHint : 1
; COMPUTE_PGM_RSRC2:SCRATCH_EN: 1
; COMPUTE_PGM_RSRC2:USER_SGPR: 6
; COMPUTE_PGM_RSRC2:TRAP_HANDLER: 0
; COMPUTE_PGM_RSRC2:TGID_X_EN: 1
; COMPUTE_PGM_RSRC2:TGID_Y_EN: 0
; COMPUTE_PGM_RSRC2:TGID_Z_EN: 0
; COMPUTE_PGM_RSRC2:TIDIG_COMP_CNT: 0
	.type	__hip_cuid_e4e87b33a1d55cab,@object ; @__hip_cuid_e4e87b33a1d55cab
	.section	.bss,"aw",@nobits
	.globl	__hip_cuid_e4e87b33a1d55cab
__hip_cuid_e4e87b33a1d55cab:
	.byte	0                               ; 0x0
	.size	__hip_cuid_e4e87b33a1d55cab, 1

	.ident	"AMD clang version 19.0.0git (https://github.com/RadeonOpenCompute/llvm-project roc-6.4.0 25133 c7fe45cf4b819c5991fe208aaa96edf142730f1d)"
	.section	".note.GNU-stack","",@progbits
	.addrsig
	.addrsig_sym __hip_cuid_e4e87b33a1d55cab
	.amdgpu_metadata
---
amdhsa.kernels:
  - .args:
      - .actual_access:  read_only
        .address_space:  global
        .offset:         0
        .size:           8
        .value_kind:     global_buffer
      - .actual_access:  read_only
        .address_space:  global
        .offset:         8
        .size:           8
        .value_kind:     global_buffer
      - .actual_access:  read_only
        .address_space:  global
        .offset:         16
        .size:           8
        .value_kind:     global_buffer
      - .actual_access:  read_only
        .address_space:  global
        .offset:         24
        .size:           8
        .value_kind:     global_buffer
      - .actual_access:  read_only
        .address_space:  global
        .offset:         32
        .size:           8
        .value_kind:     global_buffer
      - .offset:         40
        .size:           8
        .value_kind:     by_value
      - .address_space:  global
        .offset:         48
        .size:           8
        .value_kind:     global_buffer
      - .address_space:  global
        .offset:         56
        .size:           8
        .value_kind:     global_buffer
      - .address_space:  global
        .offset:         64
        .size:           8
        .value_kind:     global_buffer
      - .address_space:  global
        .offset:         72
        .size:           8
        .value_kind:     global_buffer
      - .offset:         80
        .size:           4
        .value_kind:     by_value
      - .address_space:  global
        .offset:         88
        .size:           8
        .value_kind:     global_buffer
      - .address_space:  global
        .offset:         96
        .size:           8
        .value_kind:     global_buffer
    .group_segment_fixed_size: 24752
    .kernarg_segment_align: 8
    .kernarg_segment_size: 104
    .language:       OpenCL C
    .language_version:
      - 2
      - 0
    .max_flat_workgroup_size: 119
    .name:           bluestein_single_back_len1547_dim1_dp_op_CI_CI
    .private_segment_fixed_size: 548
    .sgpr_count:     72
    .sgpr_spill_count: 0
    .symbol:         bluestein_single_back_len1547_dim1_dp_op_CI_CI.kd
    .uniform_work_group_size: 1
    .uses_dynamic_stack: false
    .vgpr_count:     256
    .vgpr_spill_count: 242
    .wavefront_size: 64
amdhsa.target:   amdgcn-amd-amdhsa--gfx906
amdhsa.version:
  - 1
  - 2
...

	.end_amdgpu_metadata
